;; amdgpu-corpus repo=zjin-lcf/HeCBench kind=compiled arch=gfx1250 opt=O3
	.amdgcn_target "amdgcn-amd-amdhsa--gfx1250"
	.amdhsa_code_object_version 6
	.section	.text._Z32nll_loss_forward_reduce2d_kernelIffiLi64EEvPT_S1_PKS0_PKT1_S3_blll,"axG",@progbits,_Z32nll_loss_forward_reduce2d_kernelIffiLi64EEvPT_S1_PKS0_PKT1_S3_blll,comdat
	.protected	_Z32nll_loss_forward_reduce2d_kernelIffiLi64EEvPT_S1_PKS0_PKT1_S3_blll ; -- Begin function _Z32nll_loss_forward_reduce2d_kernelIffiLi64EEvPT_S1_PKS0_PKT1_S3_blll
	.globl	_Z32nll_loss_forward_reduce2d_kernelIffiLi64EEvPT_S1_PKS0_PKT1_S3_blll
	.p2align	8
	.type	_Z32nll_loss_forward_reduce2d_kernelIffiLi64EEvPT_S1_PKS0_PKT1_S3_blll,@function
_Z32nll_loss_forward_reduce2d_kernelIffiLi64EEvPT_S1_PKS0_PKT1_S3_blll: ; @_Z32nll_loss_forward_reduce2d_kernelIffiLi64EEvPT_S1_PKS0_PKT1_S3_blll
; %bb.0:
	s_clause 0x1
	s_load_b128 s[8:11], s[0:1], 0x30
	s_load_b128 s[4:7], s[0:1], 0x0
	v_dual_mov_b32 v1, 0 :: v_dual_lshlrev_b32 v10, 2, v0
	s_mov_b32 s14, exec_lo
	ds_store_2addr_stride64_b32 v10, v1, v1 offset1:1
	s_wait_kmcnt 0x0
	v_cmpx_gt_i64_e64 s[8:9], v[0:1]
	s_cbranch_execz .LBB0_8
; %bb.1:
	v_mul_u64_e32 v[4:5], s[10:11], v[0:1]
	s_clause 0x2
	s_load_b64 s[2:3], s[0:1], 0x20
	s_load_b128 s[16:19], s[0:1], 0x10
	s_load_b64 s[12:13], s[0:1], 0x40
	v_dual_mov_b32 v3, v1 :: v_dual_lshlrev_b32 v2, 2, v0
	v_mov_b64_e32 v[6:7], v[0:1]
	v_dual_mov_b32 v12, v1 :: v_dual_add_nc_u32 v11, 0x100, v10
	s_wait_kmcnt 0x0
	s_cmp_lg_u64 s[2:3], 0
	v_add_nc_u64_e32 v[2:3], s[18:19], v[2:3]
	s_cselect_b32 s15, -1, 0
	s_lshl_b64 s[10:11], s[10:11], 8
	v_lshl_add_u64 v[4:5], v[4:5], 2, s[16:17]
	s_mov_b32 s16, 0
	s_branch .LBB0_5
.LBB0_2:                                ;   in Loop: Header=BB0_5 Depth=1
	v_lshl_add_u64 v[14:15], v[8:9], 2, s[2:3]
	global_load_b32 v13, v[14:15], off
.LBB0_3:                                ;   in Loop: Header=BB0_5 Depth=1
	v_lshl_add_u64 v[8:9], v[8:9], 2, v[4:5]
	s_wait_loadcnt 0x0
	s_delay_alu instid0(VALU_DEP_2)
	v_add_f32_e32 v1, v13, v1
	global_load_b32 v8, v[8:9], off
	s_wait_loadcnt 0x0
	v_fma_f32 v12, -v13, v8, v12
	ds_store_b32 v11, v12
	ds_store_b32 v10, v1
.LBB0_4:                                ;   in Loop: Header=BB0_5 Depth=1
	s_or_b32 exec_lo, exec_lo, s17
	v_add_nc_u64_e32 v[6:7], 64, v[6:7]
	v_add_nc_u64_e32 v[4:5], s[10:11], v[4:5]
	;; [unrolled: 1-line block ×3, first 2 shown]
	s_delay_alu instid0(VALU_DEP_3) | instskip(SKIP_1) | instid1(SALU_CYCLE_1)
	v_cmp_le_i64_e32 vcc_lo, s[8:9], v[6:7]
	s_or_b32 s16, vcc_lo, s16
	s_and_not1_b32 exec_lo, exec_lo, s16
	s_cbranch_execz .LBB0_8
.LBB0_5:                                ; =>This Inner Loop Header: Depth=1
	global_load_b32 v8, v[2:3], off
	s_mov_b32 s17, exec_lo
	s_wait_loadcnt 0x0
	v_ashrrev_i32_e32 v9, 31, v8
	s_delay_alu instid0(VALU_DEP_1)
	v_cmpx_ne_u64_e64 s[12:13], v[8:9]
	s_cbranch_execz .LBB0_4
; %bb.6:                                ;   in Loop: Header=BB0_5 Depth=1
	s_and_not1_b32 vcc_lo, exec_lo, s15
	s_cbranch_vccz .LBB0_2
; %bb.7:                                ;   in Loop: Header=BB0_5 Depth=1
	v_mov_b32_e32 v13, 1.0
	s_branch .LBB0_3
.LBB0_8:
	s_or_b32 exec_lo, exec_lo, s14
; %bb.9:
	s_wait_dscnt 0x0
	s_barrier_signal -1
	s_barrier_wait -1
	s_mov_b32 s2, exec_lo
	v_cmpx_eq_u32_e32 0, v0
	s_cbranch_execz .LBB0_11
; %bb.10:
	v_mov_b32_e32 v20, 0
	s_load_b32 s0, s[0:1], 0x28
	ds_load_2addr_b64 v[0:3], v20 offset0:31 offset1:32
	ds_load_b128 v[4:7], v20
	ds_load_2addr_b64 v[12:15], v20 offset0:33 offset1:34
	ds_load_b128 v[8:11], v20 offset:16
	ds_load_2addr_b64 v[16:19], v20 offset0:29 offset1:30
	s_wait_kmcnt 0x0
	s_bitcmp1_b32 s0, 0
	s_wait_dscnt 0x3
	v_dual_mov_b32 v22, v2 :: v_dual_mov_b32 v23, v4
	s_wait_dscnt 0x2
	v_dual_mov_b32 v4, v3 :: v_dual_mov_b32 v26, v12
	v_dual_mov_b32 v27, v6 :: v_dual_mov_b32 v6, v13
	s_delay_alu instid0(VALU_DEP_3) | instskip(SKIP_2) | instid1(VALU_DEP_1)
	v_pk_add_f32 v[2:3], v[22:23], 0 op_sel_hi:[1,0]
	ds_load_2addr_b64 v[22:25], v20 offset0:35 offset1:36
	v_pk_add_f32 v[2:3], v[2:3], v[4:5]
	v_pk_add_f32 v[12:13], v[2:3], v[26:27]
	ds_load_b128 v[2:5], v20 offset:32
	s_wait_dscnt 0x3
	v_dual_mov_b32 v26, v14 :: v_dual_mov_b32 v27, v8
	v_mov_b32_e32 v8, v15
	v_pk_add_f32 v[6:7], v[12:13], v[6:7]
	ds_load_2addr_b64 v[12:15], v20 offset0:37 offset1:38
	v_pk_add_f32 v[6:7], v[6:7], v[26:27]
	s_wait_dscnt 0x2
	v_dual_mov_b32 v26, v22 :: v_dual_mov_b32 v27, v10
	v_mov_b32_e32 v10, v23
	s_delay_alu instid0(VALU_DEP_3) | instskip(NEXT) | instid1(VALU_DEP_1)
	v_pk_add_f32 v[6:7], v[6:7], v[8:9]
	v_pk_add_f32 v[22:23], v[6:7], v[26:27]
	ds_load_b128 v[6:9], v20 offset:48
	s_wait_dscnt 0x2
	v_dual_mov_b32 v26, v24 :: v_dual_mov_b32 v27, v2
	v_mov_b32_e32 v2, v25
	v_pk_add_f32 v[10:11], v[22:23], v[10:11]
	ds_load_2addr_b64 v[22:25], v20 offset0:39 offset1:40
	v_pk_add_f32 v[10:11], v[10:11], v[26:27]
	s_wait_dscnt 0x2
	v_dual_mov_b32 v26, v12 :: v_dual_mov_b32 v27, v4
	v_mov_b32_e32 v4, v13
	s_delay_alu instid0(VALU_DEP_3)
	v_pk_add_f32 v[2:3], v[10:11], v[2:3]
	ds_load_b96 v[10:12], v20 offset:64
	v_pk_add_f32 v[2:3], v[2:3], v[26:27]
	s_wait_dscnt 0x2
	v_dual_mov_b32 v26, v14 :: v_dual_mov_b32 v27, v6
	v_dual_mov_b32 v6, v15 :: v_dual_mov_b32 v15, v8
	s_delay_alu instid0(VALU_DEP_3) | instskip(SKIP_4) | instid1(VALU_DEP_1)
	v_pk_add_f32 v[2:3], v[2:3], v[4:5]
	ds_load_2addr_b32 v[4:5], v20 offset0:81 offset1:82
	s_wait_dscnt 0x2
	v_dual_mov_b32 v14, v22 :: v_dual_mov_b32 v8, v23
	v_pk_add_f32 v[2:3], v[2:3], v[26:27]
	v_pk_add_f32 v[2:3], v[2:3], v[6:7]
	ds_load_2addr_b32 v[6:7], v20 offset0:83 offset1:84
	ds_load_2addr_b32 v[26:27], v20 offset0:19 offset1:20
	s_wait_dscnt 0x3
	v_mov_b32_e32 v25, v10
	v_pk_add_f32 v[2:3], v[2:3], v[14:15]
	s_delay_alu instid0(VALU_DEP_1)
	v_pk_add_f32 v[2:3], v[2:3], v[8:9]
	s_wait_dscnt 0x2
	v_dual_mov_b32 v10, v4 :: v_dual_mov_b32 v4, v5
	ds_load_2addr_b32 v[8:9], v20 offset0:21 offset1:22
	ds_load_2addr_b32 v[14:15], v20 offset0:85 offset1:86
	;; [unrolled: 1-line block ×3, first 2 shown]
	v_mov_b32_e32 v5, v12
	v_pk_add_f32 v[2:3], v[2:3], v[24:25]
	s_wait_dscnt 0x4
	v_mov_b32_e32 v12, v6
	s_delay_alu instid0(VALU_DEP_2)
	v_pk_add_f32 v[2:3], v[2:3], v[10:11]
	ds_load_2addr_b32 v[10:11], v20 offset0:23 offset1:24
	s_wait_dscnt 0x4
	v_dual_mov_b32 v13, v26 :: v_dual_mov_b32 v26, v7
	v_pk_add_f32 v[2:3], v[2:3], v[4:5]
	s_wait_dscnt 0x2
	v_dual_mov_b32 v5, v8 :: v_dual_mov_b32 v4, v14
	s_delay_alu instid0(VALU_DEP_2)
	v_pk_add_f32 v[2:3], v[2:3], v[12:13]
	ds_load_2addr_b32 v[12:13], v20 offset0:89 offset1:90
	ds_load_2addr_b32 v[24:25], v20 offset0:25 offset1:26
	v_mov_b32_e32 v8, v15
	ds_load_2addr_b32 v[14:15], v20 offset0:27 offset1:49
	v_pk_add_f32 v[2:3], v[2:3], v[26:27]
	s_wait_dscnt 0x3
	v_dual_mov_b32 v26, v22 :: v_dual_mov_b32 v27, v10
	v_mov_b32_e32 v10, v23
	s_delay_alu instid0(VALU_DEP_3) | instskip(NEXT) | instid1(VALU_DEP_1)
	v_pk_add_f32 v[2:3], v[2:3], v[4:5]
	v_pk_add_f32 v[28:29], v[2:3], v[8:9]
	ds_load_2addr_b32 v[30:31], v20 offset0:91 offset1:92
	ds_load_b128 v[2:5], v20 offset:368
	ds_load_b128 v[6:9], v20 offset:112
	v_pk_add_f32 v[22:23], v[28:29], v[26:27]
	s_wait_dscnt 0x4
	v_dual_mov_b32 v26, v12 :: v_dual_mov_b32 v27, v24
	s_wait_dscnt 0x2
	v_dual_mov_b32 v24, v13 :: v_dual_mov_b32 v31, v14
	v_pk_add_f32 v[10:11], v[22:23], v[10:11]
	s_delay_alu instid0(VALU_DEP_1) | instskip(NEXT) | instid1(VALU_DEP_1)
	v_pk_add_f32 v[10:11], v[10:11], v[26:27]
	v_pk_add_f32 v[26:27], v[10:11], v[24:25]
	ds_load_b128 v[10:13], v20 offset:384
	ds_load_b128 v[22:25], v20 offset:128
	s_wait_dscnt 0x2
	v_dual_mov_b32 v28, v2 :: v_dual_mov_b32 v29, v6
	v_mov_b32_e32 v6, v3
	v_pk_add_f32 v[26:27], v[26:27], v[30:31]
	s_delay_alu instid0(VALU_DEP_1) | instskip(SKIP_2) | instid1(VALU_DEP_3)
	v_pk_add_f32 v[2:3], v[26:27], v[28:29]
	v_dual_mov_b32 v26, v4 :: v_dual_mov_b32 v27, v8
	v_mov_b32_e32 v8, v5
	v_pk_add_f32 v[2:3], v[2:3], v[6:7]
	s_delay_alu instid0(VALU_DEP_1)
	v_pk_add_f32 v[6:7], v[2:3], v[26:27]
	ds_load_b128 v[2:5], v20 offset:400
	ds_load_b96 v[26:28], v20 offset:144
	s_wait_dscnt 0x2
	v_dual_mov_b32 v30, v10 :: v_dual_mov_b32 v31, v22
	v_mov_b32_e32 v22, v11
	v_pk_add_f32 v[6:7], v[6:7], v[8:9]
	v_dual_mov_b32 v8, v12 :: v_dual_mov_b32 v9, v24
	v_mov_b32_e32 v24, v13
	s_delay_alu instid0(VALU_DEP_3) | instskip(NEXT) | instid1(VALU_DEP_1)
	v_pk_add_f32 v[6:7], v[6:7], v[30:31]
	v_pk_add_f32 v[6:7], v[6:7], v[22:23]
	ds_load_2addr_b32 v[10:11], v20 offset0:103 offset1:104
	ds_load_2addr_b32 v[22:23], v20 offset0:39 offset1:40
	v_pk_add_f32 v[6:7], v[6:7], v[8:9]
	s_wait_dscnt 0x2
	v_dual_mov_b32 v8, v2 :: v_dual_mov_b32 v9, v26
	v_dual_mov_b32 v26, v3 :: v_dual_mov_b32 v5, v28
	s_delay_alu instid0(VALU_DEP_3)
	v_pk_add_f32 v[6:7], v[6:7], v[24:25]
	ds_load_2addr_b32 v[12:13], v20 offset0:105 offset1:106
	ds_load_2addr_b32 v[24:25], v20 offset0:41 offset1:42
	v_pk_add_f32 v[2:3], v[6:7], v[8:9]
	ds_load_2addr_b32 v[6:7], v20 offset0:107 offset1:108
	ds_load_2addr_b32 v[8:9], v20 offset0:43 offset1:44
	;; [unrolled: 1-line block ×4, first 2 shown]
	v_pk_add_f32 v[2:3], v[2:3], v[26:27]
	s_wait_dscnt 0x6
	v_dual_mov_b32 v26, v10 :: v_dual_mov_b32 v27, v22
	v_mov_b32_e32 v22, v11
	s_delay_alu instid0(VALU_DEP_3) | instskip(NEXT) | instid1(VALU_DEP_1)
	v_pk_add_f32 v[2:3], v[2:3], v[4:5]
	v_pk_add_f32 v[2:3], v[2:3], v[26:27]
	s_wait_dscnt 0x4
	v_dual_mov_b32 v4, v12 :: v_dual_mov_b32 v5, v24
	v_mov_b32_e32 v24, v13
	ds_load_2addr_b32 v[10:11], v20 offset0:45 offset1:46
	ds_load_2addr_b32 v[26:27], v20 offset0:47 offset1:48
	v_pk_add_f32 v[2:3], v[2:3], v[22:23]
	s_wait_dscnt 0x3
	v_mov_b32_e32 v12, v28
	s_delay_alu instid0(VALU_DEP_2) | instskip(SKIP_2) | instid1(VALU_DEP_3)
	v_pk_add_f32 v[2:3], v[2:3], v[4:5]
	v_dual_mov_b32 v4, v6 :: v_dual_mov_b32 v5, v8
	v_mov_b32_e32 v8, v7
	v_pk_add_f32 v[2:3], v[2:3], v[24:25]
	s_delay_alu instid0(VALU_DEP_1) | instskip(SKIP_2) | instid1(VALU_DEP_2)
	v_pk_add_f32 v[2:3], v[2:3], v[4:5]
	s_wait_dscnt 0x1
	v_dual_mov_b32 v13, v10 :: v_dual_mov_b32 v10, v29
	v_pk_add_f32 v[22:23], v[2:3], v[8:9]
	ds_load_2addr_b32 v[32:33], v20 offset0:113 offset1:114
	ds_load_2addr_b64 v[2:5], v20 offset0:57 offset1:58
	ds_load_2addr_b64 v[6:9], v20 offset0:25 offset1:26
	s_wait_dscnt 0x2
	v_mov_b32_e32 v33, v15
	v_pk_add_f32 v[12:13], v[22:23], v[12:13]
	v_dual_mov_b32 v22, v30 :: v_dual_mov_b32 v23, v26
	v_mov_b32_e32 v26, v31
	s_delay_alu instid0(VALU_DEP_3) | instskip(NEXT) | instid1(VALU_DEP_1)
	v_pk_add_f32 v[10:11], v[12:13], v[10:11]
	v_pk_add_f32 v[10:11], v[10:11], v[22:23]
	s_delay_alu instid0(VALU_DEP_1)
	v_pk_add_f32 v[14:15], v[10:11], v[26:27]
	ds_load_2addr_b64 v[10:13], v20 offset0:59 offset1:60
	ds_load_2addr_b64 v[22:25], v20 offset0:27 offset1:28
	s_wait_dscnt 0x2
	v_dual_mov_b32 v26, v2 :: v_dual_mov_b32 v27, v6
	v_mov_b32_e32 v6, v3
	v_pk_add_f32 v[14:15], v[14:15], v[32:33]
	s_delay_alu instid0(VALU_DEP_1) | instskip(SKIP_2) | instid1(VALU_DEP_3)
	v_pk_add_f32 v[2:3], v[14:15], v[26:27]
	v_dual_mov_b32 v14, v4 :: v_dual_mov_b32 v15, v8
	v_mov_b32_e32 v8, v5
	v_pk_add_f32 v[2:3], v[2:3], v[6:7]
	s_delay_alu instid0(VALU_DEP_1)
	v_pk_add_f32 v[6:7], v[2:3], v[14:15]
	ds_load_2addr_b64 v[2:5], v20 offset0:61 offset1:62
	s_wait_dscnt 0x1
	v_dual_mov_b32 v14, v10 :: v_dual_mov_b32 v15, v22
	v_mov_b32_e32 v22, v11
	v_pk_add_f32 v[6:7], v[6:7], v[8:9]
	v_dual_mov_b32 v8, v12 :: v_dual_mov_b32 v9, v24
	v_dual_mov_b32 v24, v13 :: v_dual_mov_b32 v11, v16
	s_delay_alu instid0(VALU_DEP_3) | instskip(NEXT) | instid1(VALU_DEP_1)
	v_pk_add_f32 v[6:7], v[6:7], v[14:15]
	v_pk_add_f32 v[6:7], v[6:7], v[22:23]
	s_delay_alu instid0(VALU_DEP_1) | instskip(SKIP_4) | instid1(VALU_DEP_1)
	v_pk_add_f32 v[6:7], v[6:7], v[8:9]
	ds_load_b64 v[8:9], v20 offset:504
	s_wait_dscnt 0x1
	v_dual_mov_b32 v10, v2 :: v_dual_mov_b32 v16, v3
	v_pk_add_f32 v[6:7], v[6:7], v[24:25]
	v_pk_add_f32 v[2:3], v[6:7], v[10:11]
	v_dual_mov_b32 v6, v4 :: v_dual_mov_b32 v7, v18
	v_dual_mov_b32 v18, v5 :: v_dual_mov_b32 v5, v0
	s_delay_alu instid0(VALU_DEP_3) | instskip(NEXT) | instid1(VALU_DEP_1)
	v_pk_add_f32 v[2:3], v[2:3], v[16:17]
	v_pk_add_f32 v[2:3], v[2:3], v[6:7]
	s_wait_dscnt 0x0
	v_dual_mov_b32 v4, v8 :: v_dual_mov_b32 v0, v9
	s_delay_alu instid0(VALU_DEP_2) | instskip(NEXT) | instid1(VALU_DEP_1)
	v_pk_add_f32 v[2:3], v[2:3], v[18:19]
	v_pk_add_f32 v[2:3], v[2:3], v[4:5]
	s_delay_alu instid0(VALU_DEP_1) | instskip(NEXT) | instid1(VALU_DEP_1)
	v_pk_add_f32 v[0:1], v[2:3], v[0:1]
	v_div_scale_f32 v2, null, v1, v1, v0
	s_delay_alu instid0(VALU_DEP_1)
	v_rcp_f32_e32 v3, v2
	v_nop
	v_xor_b32_e32 v2, 0x80000000, v2
	s_delay_alu instid0(TRANS32_DEP_1) | instid1(VALU_DEP_1)
	v_fma_f32 v4, v2, v3, 1.0
	s_delay_alu instid0(VALU_DEP_1) | instskip(SKIP_1) | instid1(VALU_DEP_1)
	v_fmac_f32_e32 v3, v4, v3
	v_div_scale_f32 v4, vcc_lo, v0, v1, v0
	v_mul_f32_e32 v5, v4, v3
	s_delay_alu instid0(VALU_DEP_1) | instskip(NEXT) | instid1(VALU_DEP_1)
	v_fma_f32 v6, v2, v5, v4
	v_fmac_f32_e32 v5, v6, v3
	s_delay_alu instid0(VALU_DEP_1) | instskip(NEXT) | instid1(VALU_DEP_1)
	v_fmac_f32_e32 v4, v2, v5
	v_div_fmas_f32 v2, v4, v3, v5
	s_cselect_b32 vcc_lo, -1, 0
	s_delay_alu instid0(VALU_DEP_1) | instskip(NEXT) | instid1(VALU_DEP_1)
	v_div_fixup_f32 v2, v2, v1, v0
	v_cndmask_b32_e32 v0, v0, v2, vcc_lo
	s_clause 0x1
	global_store_b32 v20, v1, s[6:7]
	global_store_b32 v20, v0, s[4:5]
.LBB0_11:
	s_endpgm
	.section	.rodata,"a",@progbits
	.p2align	6, 0x0
	.amdhsa_kernel _Z32nll_loss_forward_reduce2d_kernelIffiLi64EEvPT_S1_PKS0_PKT1_S3_blll
		.amdhsa_group_segment_fixed_size 512
		.amdhsa_private_segment_fixed_size 0
		.amdhsa_kernarg_size 72
		.amdhsa_user_sgpr_count 2
		.amdhsa_user_sgpr_dispatch_ptr 0
		.amdhsa_user_sgpr_queue_ptr 0
		.amdhsa_user_sgpr_kernarg_segment_ptr 1
		.amdhsa_user_sgpr_dispatch_id 0
		.amdhsa_user_sgpr_kernarg_preload_length 0
		.amdhsa_user_sgpr_kernarg_preload_offset 0
		.amdhsa_user_sgpr_private_segment_size 0
		.amdhsa_wavefront_size32 1
		.amdhsa_uses_dynamic_stack 0
		.amdhsa_enable_private_segment 0
		.amdhsa_system_sgpr_workgroup_id_x 1
		.amdhsa_system_sgpr_workgroup_id_y 0
		.amdhsa_system_sgpr_workgroup_id_z 0
		.amdhsa_system_sgpr_workgroup_info 0
		.amdhsa_system_vgpr_workitem_id 0
		.amdhsa_next_free_vgpr 34
		.amdhsa_next_free_sgpr 20
		.amdhsa_named_barrier_count 0
		.amdhsa_reserve_vcc 1
		.amdhsa_float_round_mode_32 0
		.amdhsa_float_round_mode_16_64 0
		.amdhsa_float_denorm_mode_32 3
		.amdhsa_float_denorm_mode_16_64 3
		.amdhsa_fp16_overflow 0
		.amdhsa_memory_ordered 1
		.amdhsa_forward_progress 1
		.amdhsa_inst_pref_size 16
		.amdhsa_round_robin_scheduling 0
		.amdhsa_exception_fp_ieee_invalid_op 0
		.amdhsa_exception_fp_denorm_src 0
		.amdhsa_exception_fp_ieee_div_zero 0
		.amdhsa_exception_fp_ieee_overflow 0
		.amdhsa_exception_fp_ieee_underflow 0
		.amdhsa_exception_fp_ieee_inexact 0
		.amdhsa_exception_int_div_zero 0
	.end_amdhsa_kernel
	.section	.text._Z32nll_loss_forward_reduce2d_kernelIffiLi64EEvPT_S1_PKS0_PKT1_S3_blll,"axG",@progbits,_Z32nll_loss_forward_reduce2d_kernelIffiLi64EEvPT_S1_PKS0_PKT1_S3_blll,comdat
.Lfunc_end0:
	.size	_Z32nll_loss_forward_reduce2d_kernelIffiLi64EEvPT_S1_PKS0_PKT1_S3_blll, .Lfunc_end0-_Z32nll_loss_forward_reduce2d_kernelIffiLi64EEvPT_S1_PKS0_PKT1_S3_blll
                                        ; -- End function
	.set _Z32nll_loss_forward_reduce2d_kernelIffiLi64EEvPT_S1_PKS0_PKT1_S3_blll.num_vgpr, 34
	.set _Z32nll_loss_forward_reduce2d_kernelIffiLi64EEvPT_S1_PKS0_PKT1_S3_blll.num_agpr, 0
	.set _Z32nll_loss_forward_reduce2d_kernelIffiLi64EEvPT_S1_PKS0_PKT1_S3_blll.numbered_sgpr, 20
	.set _Z32nll_loss_forward_reduce2d_kernelIffiLi64EEvPT_S1_PKS0_PKT1_S3_blll.num_named_barrier, 0
	.set _Z32nll_loss_forward_reduce2d_kernelIffiLi64EEvPT_S1_PKS0_PKT1_S3_blll.private_seg_size, 0
	.set _Z32nll_loss_forward_reduce2d_kernelIffiLi64EEvPT_S1_PKS0_PKT1_S3_blll.uses_vcc, 1
	.set _Z32nll_loss_forward_reduce2d_kernelIffiLi64EEvPT_S1_PKS0_PKT1_S3_blll.uses_flat_scratch, 0
	.set _Z32nll_loss_forward_reduce2d_kernelIffiLi64EEvPT_S1_PKS0_PKT1_S3_blll.has_dyn_sized_stack, 0
	.set _Z32nll_loss_forward_reduce2d_kernelIffiLi64EEvPT_S1_PKS0_PKT1_S3_blll.has_recursion, 0
	.set _Z32nll_loss_forward_reduce2d_kernelIffiLi64EEvPT_S1_PKS0_PKT1_S3_blll.has_indirect_call, 0
	.section	.AMDGPU.csdata,"",@progbits
; Kernel info:
; codeLenInByte = 1996
; TotalNumSgprs: 22
; NumVgprs: 34
; ScratchSize: 0
; MemoryBound: 0
; FloatMode: 240
; IeeeMode: 1
; LDSByteSize: 512 bytes/workgroup (compile time only)
; SGPRBlocks: 0
; VGPRBlocks: 2
; NumSGPRsForWavesPerEU: 22
; NumVGPRsForWavesPerEU: 34
; NamedBarCnt: 0
; Occupancy: 16
; WaveLimiterHint : 1
; COMPUTE_PGM_RSRC2:SCRATCH_EN: 0
; COMPUTE_PGM_RSRC2:USER_SGPR: 2
; COMPUTE_PGM_RSRC2:TRAP_HANDLER: 0
; COMPUTE_PGM_RSRC2:TGID_X_EN: 1
; COMPUTE_PGM_RSRC2:TGID_Y_EN: 0
; COMPUTE_PGM_RSRC2:TGID_Z_EN: 0
; COMPUTE_PGM_RSRC2:TIDIG_COMP_CNT: 0
	.section	.text._Z32nll_loss_forward_reduce2d_kernelIffiLi128EEvPT_S1_PKS0_PKT1_S3_blll,"axG",@progbits,_Z32nll_loss_forward_reduce2d_kernelIffiLi128EEvPT_S1_PKS0_PKT1_S3_blll,comdat
	.protected	_Z32nll_loss_forward_reduce2d_kernelIffiLi128EEvPT_S1_PKS0_PKT1_S3_blll ; -- Begin function _Z32nll_loss_forward_reduce2d_kernelIffiLi128EEvPT_S1_PKS0_PKT1_S3_blll
	.globl	_Z32nll_loss_forward_reduce2d_kernelIffiLi128EEvPT_S1_PKS0_PKT1_S3_blll
	.p2align	8
	.type	_Z32nll_loss_forward_reduce2d_kernelIffiLi128EEvPT_S1_PKS0_PKT1_S3_blll,@function
_Z32nll_loss_forward_reduce2d_kernelIffiLi128EEvPT_S1_PKS0_PKT1_S3_blll: ; @_Z32nll_loss_forward_reduce2d_kernelIffiLi128EEvPT_S1_PKS0_PKT1_S3_blll
; %bb.0:
	s_clause 0x1
	s_load_b128 s[8:11], s[0:1], 0x30
	s_load_b128 s[4:7], s[0:1], 0x0
	v_dual_mov_b32 v1, 0 :: v_dual_lshlrev_b32 v10, 2, v0
	s_mov_b32 s14, exec_lo
	ds_store_2addr_stride64_b32 v10, v1, v1 offset1:2
	s_wait_kmcnt 0x0
	v_cmpx_gt_i64_e64 s[8:9], v[0:1]
	s_cbranch_execz .LBB1_8
; %bb.1:
	v_mul_u64_e32 v[4:5], s[10:11], v[0:1]
	s_clause 0x2
	s_load_b64 s[2:3], s[0:1], 0x20
	s_load_b128 s[16:19], s[0:1], 0x10
	s_load_b64 s[12:13], s[0:1], 0x40
	v_dual_mov_b32 v3, v1 :: v_dual_lshlrev_b32 v2, 2, v0
	v_mov_b64_e32 v[6:7], v[0:1]
	v_dual_mov_b32 v12, v1 :: v_dual_add_nc_u32 v11, 0x200, v10
	s_wait_kmcnt 0x0
	s_cmp_lg_u64 s[2:3], 0
	v_add_nc_u64_e32 v[2:3], s[18:19], v[2:3]
	s_cselect_b32 s15, -1, 0
	s_lshl_b64 s[10:11], s[10:11], 9
	v_lshl_add_u64 v[4:5], v[4:5], 2, s[16:17]
	s_mov_b32 s16, 0
	s_branch .LBB1_5
.LBB1_2:                                ;   in Loop: Header=BB1_5 Depth=1
	v_lshl_add_u64 v[14:15], v[8:9], 2, s[2:3]
	global_load_b32 v13, v[14:15], off
.LBB1_3:                                ;   in Loop: Header=BB1_5 Depth=1
	v_lshl_add_u64 v[8:9], v[8:9], 2, v[4:5]
	s_wait_loadcnt 0x0
	s_delay_alu instid0(VALU_DEP_2)
	v_add_f32_e32 v1, v13, v1
	global_load_b32 v8, v[8:9], off
	s_wait_loadcnt 0x0
	v_fma_f32 v12, -v13, v8, v12
	ds_store_b32 v11, v12
	ds_store_b32 v10, v1
.LBB1_4:                                ;   in Loop: Header=BB1_5 Depth=1
	s_or_b32 exec_lo, exec_lo, s17
	v_add_nc_u64_e32 v[6:7], 0x80, v[6:7]
	v_add_nc_u64_e32 v[4:5], s[10:11], v[4:5]
	;; [unrolled: 1-line block ×3, first 2 shown]
	s_delay_alu instid0(VALU_DEP_3) | instskip(SKIP_1) | instid1(SALU_CYCLE_1)
	v_cmp_le_i64_e32 vcc_lo, s[8:9], v[6:7]
	s_or_b32 s16, vcc_lo, s16
	s_and_not1_b32 exec_lo, exec_lo, s16
	s_cbranch_execz .LBB1_8
.LBB1_5:                                ; =>This Inner Loop Header: Depth=1
	global_load_b32 v8, v[2:3], off
	s_mov_b32 s17, exec_lo
	s_wait_loadcnt 0x0
	v_ashrrev_i32_e32 v9, 31, v8
	s_delay_alu instid0(VALU_DEP_1)
	v_cmpx_ne_u64_e64 s[12:13], v[8:9]
	s_cbranch_execz .LBB1_4
; %bb.6:                                ;   in Loop: Header=BB1_5 Depth=1
	s_and_not1_b32 vcc_lo, exec_lo, s15
	s_cbranch_vccz .LBB1_2
; %bb.7:                                ;   in Loop: Header=BB1_5 Depth=1
	v_mov_b32_e32 v13, 1.0
	s_branch .LBB1_3
.LBB1_8:
	s_or_b32 exec_lo, exec_lo, s14
	s_wait_dscnt 0x0
	s_barrier_signal -1
	s_barrier_wait -1
	s_mov_b32 s2, exec_lo
	v_cmpx_eq_u32_e32 0, v0
	s_cbranch_execz .LBB1_10
; %bb.9:
	v_mov_b32_e32 v0, 0
	s_load_b32 s0, s[0:1], 0x28
	ds_load_b128 v[2:5], v0
	ds_load_b128 v[6:9], v0 offset:512
	ds_load_b128 v[10:13], v0 offset:16
	;; [unrolled: 1-line block ×3, first 2 shown]
	s_wait_kmcnt 0x0
	s_bitcmp1_b32 s0, 0
	s_wait_dscnt 0x2
	v_dual_mov_b32 v18, v2 :: v_dual_mov_b32 v19, v6
	s_wait_dscnt 0x0
	v_dual_mov_b32 v6, v3 :: v_dual_mov_b32 v23, v14
	v_dual_mov_b32 v14, v11 :: v_dual_mov_b32 v22, v10
	s_delay_alu instid0(VALU_DEP_3) | instskip(SKIP_2) | instid1(VALU_DEP_3)
	v_pk_add_f32 v[2:3], v[18:19], 0 op_sel_hi:[1,0]
	v_dual_mov_b32 v18, v4 :: v_dual_mov_b32 v19, v8
	v_mov_b32_e32 v8, v5
	v_pk_add_f32 v[2:3], v[2:3], v[6:7]
	s_delay_alu instid0(VALU_DEP_1)
	v_pk_add_f32 v[6:7], v[2:3], v[18:19]
	ds_load_b128 v[2:5], v0 offset:32
	ds_load_b128 v[18:21], v0 offset:544
	v_pk_add_f32 v[6:7], v[6:7], v[8:9]
	v_dual_mov_b32 v8, v12 :: v_dual_mov_b32 v9, v16
	v_mov_b32_e32 v16, v13
	s_delay_alu instid0(VALU_DEP_3) | instskip(NEXT) | instid1(VALU_DEP_1)
	v_pk_add_f32 v[6:7], v[6:7], v[22:23]
	v_pk_add_f32 v[6:7], v[6:7], v[14:15]
	s_wait_dscnt 0x1
	v_mov_b32_e32 v22, v2
	s_delay_alu instid0(VALU_DEP_2)
	v_pk_add_f32 v[14:15], v[6:7], v[8:9]
	ds_load_b128 v[6:9], v0 offset:48
	ds_load_b128 v[10:13], v0 offset:560
	s_wait_dscnt 0x2
	v_dual_mov_b32 v23, v18 :: v_dual_mov_b32 v18, v3
	v_pk_add_f32 v[14:15], v[14:15], v[16:17]
	s_delay_alu instid0(VALU_DEP_1) | instskip(SKIP_2) | instid1(VALU_DEP_3)
	v_pk_add_f32 v[2:3], v[14:15], v[22:23]
	v_dual_mov_b32 v14, v4 :: v_dual_mov_b32 v15, v20
	v_mov_b32_e32 v20, v5
	v_pk_add_f32 v[2:3], v[2:3], v[18:19]
	s_wait_dscnt 0x1
	v_mov_b32_e32 v22, v6
	s_delay_alu instid0(VALU_DEP_2)
	v_pk_add_f32 v[18:19], v[2:3], v[14:15]
	ds_load_b128 v[2:5], v0 offset:576
	ds_load_b128 v[14:17], v0 offset:64
	s_wait_dscnt 0x2
	v_dual_mov_b32 v23, v10 :: v_dual_mov_b32 v10, v7
	v_pk_add_f32 v[18:19], v[18:19], v[20:21]
	s_delay_alu instid0(VALU_DEP_1) | instskip(SKIP_2) | instid1(VALU_DEP_3)
	v_pk_add_f32 v[6:7], v[18:19], v[22:23]
	v_dual_mov_b32 v18, v8 :: v_dual_mov_b32 v19, v12
	v_mov_b32_e32 v12, v9
	v_pk_add_f32 v[6:7], v[6:7], v[10:11]
	s_wait_dscnt 0x0
	v_dual_mov_b32 v23, v2 :: v_dual_mov_b32 v2, v15
	s_delay_alu instid0(VALU_DEP_2)
	v_pk_add_f32 v[10:11], v[6:7], v[18:19]
	ds_load_b128 v[6:9], v0 offset:592
	ds_load_b128 v[18:21], v0 offset:80
	v_mov_b32_e32 v22, v14
	v_pk_add_f32 v[10:11], v[10:11], v[12:13]
	v_dual_mov_b32 v12, v16 :: v_dual_mov_b32 v13, v4
	v_mov_b32_e32 v4, v17
	s_delay_alu instid0(VALU_DEP_3) | instskip(NEXT) | instid1(VALU_DEP_1)
	v_pk_add_f32 v[10:11], v[10:11], v[22:23]
	v_pk_add_f32 v[2:3], v[10:11], v[2:3]
	s_delay_alu instid0(VALU_DEP_1)
	v_pk_add_f32 v[2:3], v[2:3], v[12:13]
	ds_load_b128 v[10:13], v0 offset:608
	ds_load_b128 v[14:17], v0 offset:96
	s_wait_dscnt 0x2
	v_dual_mov_b32 v22, v18 :: v_dual_mov_b32 v23, v6
	v_mov_b32_e32 v6, v19
	v_pk_add_f32 v[2:3], v[2:3], v[4:5]
	v_dual_mov_b32 v4, v20 :: v_dual_mov_b32 v5, v8
	v_mov_b32_e32 v8, v21
	s_delay_alu instid0(VALU_DEP_3) | instskip(NEXT) | instid1(VALU_DEP_1)
	v_pk_add_f32 v[2:3], v[2:3], v[22:23]
	v_pk_add_f32 v[2:3], v[2:3], v[6:7]
	s_delay_alu instid0(VALU_DEP_1)
	v_pk_add_f32 v[6:7], v[2:3], v[4:5]
	ds_load_b128 v[2:5], v0 offset:624
	ds_load_b128 v[18:21], v0 offset:112
	s_wait_dscnt 0x2
	v_dual_mov_b32 v22, v14 :: v_dual_mov_b32 v23, v10
	;; [unrolled: 13-line block ×26, first 2 shown]
	v_mov_b32_e32 v10, v15
	v_pk_add_f32 v[6:7], v[6:7], v[8:9]
	v_dual_mov_b32 v8, v16 :: v_dual_mov_b32 v9, v12
	v_mov_b32_e32 v12, v17
	s_delay_alu instid0(VALU_DEP_3) | instskip(NEXT) | instid1(VALU_DEP_1)
	v_pk_add_f32 v[6:7], v[6:7], v[22:23]
	v_pk_add_f32 v[6:7], v[6:7], v[10:11]
	s_delay_alu instid0(VALU_DEP_1) | instskip(SKIP_3) | instid1(VALU_DEP_3)
	v_pk_add_f32 v[6:7], v[6:7], v[8:9]
	s_wait_dscnt 0x0
	v_dual_mov_b32 v8, v18 :: v_dual_mov_b32 v9, v2
	v_mov_b32_e32 v2, v19
	v_pk_add_f32 v[6:7], v[6:7], v[12:13]
	s_delay_alu instid0(VALU_DEP_1) | instskip(SKIP_2) | instid1(VALU_DEP_3)
	v_pk_add_f32 v[6:7], v[6:7], v[8:9]
	v_dual_mov_b32 v8, v20 :: v_dual_mov_b32 v9, v4
	v_mov_b32_e32 v4, v21
	v_pk_add_f32 v[2:3], v[6:7], v[2:3]
	s_delay_alu instid0(VALU_DEP_1) | instskip(NEXT) | instid1(VALU_DEP_1)
	v_pk_add_f32 v[2:3], v[2:3], v[8:9]
	v_pk_add_f32 v[2:3], v[2:3], v[4:5]
	s_delay_alu instid0(VALU_DEP_1) | instskip(NEXT) | instid1(VALU_DEP_1)
	v_div_scale_f32 v1, null, v2, v2, v3
	v_rcp_f32_e32 v4, v1
	v_nop
	v_xor_b32_e32 v1, 0x80000000, v1
	s_delay_alu instid0(TRANS32_DEP_1) | instid1(VALU_DEP_1)
	v_fma_f32 v5, v1, v4, 1.0
	s_delay_alu instid0(VALU_DEP_1) | instskip(SKIP_1) | instid1(VALU_DEP_1)
	v_fmac_f32_e32 v4, v5, v4
	v_div_scale_f32 v5, vcc_lo, v3, v2, v3
	v_mul_f32_e32 v6, v5, v4
	s_delay_alu instid0(VALU_DEP_1) | instskip(NEXT) | instid1(VALU_DEP_1)
	v_fma_f32 v7, v1, v6, v5
	v_fmac_f32_e32 v6, v7, v4
	s_delay_alu instid0(VALU_DEP_1) | instskip(NEXT) | instid1(VALU_DEP_1)
	v_fmac_f32_e32 v5, v1, v6
	v_div_fmas_f32 v1, v5, v4, v6
	s_cselect_b32 vcc_lo, -1, 0
	s_delay_alu instid0(VALU_DEP_1) | instskip(NEXT) | instid1(VALU_DEP_1)
	v_div_fixup_f32 v1, v1, v2, v3
	v_cndmask_b32_e32 v1, v3, v1, vcc_lo
	s_clause 0x1
	global_store_b32 v0, v2, s[6:7]
	global_store_b32 v0, v1, s[4:5]
.LBB1_10:
	s_endpgm
	.section	.rodata,"a",@progbits
	.p2align	6, 0x0
	.amdhsa_kernel _Z32nll_loss_forward_reduce2d_kernelIffiLi128EEvPT_S1_PKS0_PKT1_S3_blll
		.amdhsa_group_segment_fixed_size 1024
		.amdhsa_private_segment_fixed_size 0
		.amdhsa_kernarg_size 72
		.amdhsa_user_sgpr_count 2
		.amdhsa_user_sgpr_dispatch_ptr 0
		.amdhsa_user_sgpr_queue_ptr 0
		.amdhsa_user_sgpr_kernarg_segment_ptr 1
		.amdhsa_user_sgpr_dispatch_id 0
		.amdhsa_user_sgpr_kernarg_preload_length 0
		.amdhsa_user_sgpr_kernarg_preload_offset 0
		.amdhsa_user_sgpr_private_segment_size 0
		.amdhsa_wavefront_size32 1
		.amdhsa_uses_dynamic_stack 0
		.amdhsa_enable_private_segment 0
		.amdhsa_system_sgpr_workgroup_id_x 1
		.amdhsa_system_sgpr_workgroup_id_y 0
		.amdhsa_system_sgpr_workgroup_id_z 0
		.amdhsa_system_sgpr_workgroup_info 0
		.amdhsa_system_vgpr_workitem_id 0
		.amdhsa_next_free_vgpr 24
		.amdhsa_next_free_sgpr 20
		.amdhsa_named_barrier_count 0
		.amdhsa_reserve_vcc 1
		.amdhsa_float_round_mode_32 0
		.amdhsa_float_round_mode_16_64 0
		.amdhsa_float_denorm_mode_32 3
		.amdhsa_float_denorm_mode_16_64 3
		.amdhsa_fp16_overflow 0
		.amdhsa_memory_ordered 1
		.amdhsa_forward_progress 1
		.amdhsa_inst_pref_size 26
		.amdhsa_round_robin_scheduling 0
		.amdhsa_exception_fp_ieee_invalid_op 0
		.amdhsa_exception_fp_denorm_src 0
		.amdhsa_exception_fp_ieee_div_zero 0
		.amdhsa_exception_fp_ieee_overflow 0
		.amdhsa_exception_fp_ieee_underflow 0
		.amdhsa_exception_fp_ieee_inexact 0
		.amdhsa_exception_int_div_zero 0
	.end_amdhsa_kernel
	.section	.text._Z32nll_loss_forward_reduce2d_kernelIffiLi128EEvPT_S1_PKS0_PKT1_S3_blll,"axG",@progbits,_Z32nll_loss_forward_reduce2d_kernelIffiLi128EEvPT_S1_PKS0_PKT1_S3_blll,comdat
.Lfunc_end1:
	.size	_Z32nll_loss_forward_reduce2d_kernelIffiLi128EEvPT_S1_PKS0_PKT1_S3_blll, .Lfunc_end1-_Z32nll_loss_forward_reduce2d_kernelIffiLi128EEvPT_S1_PKS0_PKT1_S3_blll
                                        ; -- End function
	.set _Z32nll_loss_forward_reduce2d_kernelIffiLi128EEvPT_S1_PKS0_PKT1_S3_blll.num_vgpr, 24
	.set _Z32nll_loss_forward_reduce2d_kernelIffiLi128EEvPT_S1_PKS0_PKT1_S3_blll.num_agpr, 0
	.set _Z32nll_loss_forward_reduce2d_kernelIffiLi128EEvPT_S1_PKS0_PKT1_S3_blll.numbered_sgpr, 20
	.set _Z32nll_loss_forward_reduce2d_kernelIffiLi128EEvPT_S1_PKS0_PKT1_S3_blll.num_named_barrier, 0
	.set _Z32nll_loss_forward_reduce2d_kernelIffiLi128EEvPT_S1_PKS0_PKT1_S3_blll.private_seg_size, 0
	.set _Z32nll_loss_forward_reduce2d_kernelIffiLi128EEvPT_S1_PKS0_PKT1_S3_blll.uses_vcc, 1
	.set _Z32nll_loss_forward_reduce2d_kernelIffiLi128EEvPT_S1_PKS0_PKT1_S3_blll.uses_flat_scratch, 0
	.set _Z32nll_loss_forward_reduce2d_kernelIffiLi128EEvPT_S1_PKS0_PKT1_S3_blll.has_dyn_sized_stack, 0
	.set _Z32nll_loss_forward_reduce2d_kernelIffiLi128EEvPT_S1_PKS0_PKT1_S3_blll.has_recursion, 0
	.set _Z32nll_loss_forward_reduce2d_kernelIffiLi128EEvPT_S1_PKS0_PKT1_S3_blll.has_indirect_call, 0
	.section	.AMDGPU.csdata,"",@progbits
; Kernel info:
; codeLenInByte = 3220
; TotalNumSgprs: 22
; NumVgprs: 24
; ScratchSize: 0
; MemoryBound: 0
; FloatMode: 240
; IeeeMode: 1
; LDSByteSize: 1024 bytes/workgroup (compile time only)
; SGPRBlocks: 0
; VGPRBlocks: 1
; NumSGPRsForWavesPerEU: 22
; NumVGPRsForWavesPerEU: 24
; NamedBarCnt: 0
; Occupancy: 16
; WaveLimiterHint : 1
; COMPUTE_PGM_RSRC2:SCRATCH_EN: 0
; COMPUTE_PGM_RSRC2:USER_SGPR: 2
; COMPUTE_PGM_RSRC2:TRAP_HANDLER: 0
; COMPUTE_PGM_RSRC2:TGID_X_EN: 1
; COMPUTE_PGM_RSRC2:TGID_Y_EN: 0
; COMPUTE_PGM_RSRC2:TGID_Z_EN: 0
; COMPUTE_PGM_RSRC2:TIDIG_COMP_CNT: 0
	.section	.text._Z32nll_loss_forward_reduce2d_kernelIffiLi256EEvPT_S1_PKS0_PKT1_S3_blll,"axG",@progbits,_Z32nll_loss_forward_reduce2d_kernelIffiLi256EEvPT_S1_PKS0_PKT1_S3_blll,comdat
	.protected	_Z32nll_loss_forward_reduce2d_kernelIffiLi256EEvPT_S1_PKS0_PKT1_S3_blll ; -- Begin function _Z32nll_loss_forward_reduce2d_kernelIffiLi256EEvPT_S1_PKS0_PKT1_S3_blll
	.globl	_Z32nll_loss_forward_reduce2d_kernelIffiLi256EEvPT_S1_PKS0_PKT1_S3_blll
	.p2align	8
	.type	_Z32nll_loss_forward_reduce2d_kernelIffiLi256EEvPT_S1_PKS0_PKT1_S3_blll,@function
_Z32nll_loss_forward_reduce2d_kernelIffiLi256EEvPT_S1_PKS0_PKT1_S3_blll: ; @_Z32nll_loss_forward_reduce2d_kernelIffiLi256EEvPT_S1_PKS0_PKT1_S3_blll
; %bb.0:
	s_clause 0x1
	s_load_b128 s[8:11], s[0:1], 0x30
	s_load_b128 s[4:7], s[0:1], 0x0
	v_dual_mov_b32 v1, 0 :: v_dual_lshlrev_b32 v10, 2, v0
	s_mov_b32 s14, exec_lo
	ds_store_2addr_stride64_b32 v10, v1, v1 offset1:4
	s_wait_kmcnt 0x0
	v_cmpx_gt_i64_e64 s[8:9], v[0:1]
	s_cbranch_execz .LBB2_8
; %bb.1:
	v_mul_u64_e32 v[4:5], s[10:11], v[0:1]
	s_clause 0x2
	s_load_b64 s[2:3], s[0:1], 0x20
	s_load_b128 s[16:19], s[0:1], 0x10
	s_load_b64 s[12:13], s[0:1], 0x40
	v_dual_mov_b32 v3, v1 :: v_dual_lshlrev_b32 v2, 2, v0
	v_mov_b64_e32 v[6:7], v[0:1]
	v_dual_mov_b32 v12, v1 :: v_dual_add_nc_u32 v11, 0x400, v10
	s_wait_kmcnt 0x0
	s_cmp_lg_u64 s[2:3], 0
	v_add_nc_u64_e32 v[2:3], s[18:19], v[2:3]
	s_cselect_b32 s15, -1, 0
	s_lshl_b64 s[10:11], s[10:11], 10
	v_lshl_add_u64 v[4:5], v[4:5], 2, s[16:17]
	s_mov_b32 s16, 0
	s_branch .LBB2_5
.LBB2_2:                                ;   in Loop: Header=BB2_5 Depth=1
	v_lshl_add_u64 v[14:15], v[8:9], 2, s[2:3]
	global_load_b32 v13, v[14:15], off
.LBB2_3:                                ;   in Loop: Header=BB2_5 Depth=1
	v_lshl_add_u64 v[8:9], v[8:9], 2, v[4:5]
	s_wait_loadcnt 0x0
	s_delay_alu instid0(VALU_DEP_2)
	v_add_f32_e32 v1, v13, v1
	global_load_b32 v8, v[8:9], off
	s_wait_loadcnt 0x0
	v_fma_f32 v12, -v13, v8, v12
	ds_store_b32 v11, v12
	ds_store_b32 v10, v1
.LBB2_4:                                ;   in Loop: Header=BB2_5 Depth=1
	s_or_b32 exec_lo, exec_lo, s17
	v_add_nc_u64_e32 v[6:7], 0x100, v[6:7]
	v_add_nc_u64_e32 v[4:5], s[10:11], v[4:5]
	;; [unrolled: 1-line block ×3, first 2 shown]
	s_delay_alu instid0(VALU_DEP_3) | instskip(SKIP_1) | instid1(SALU_CYCLE_1)
	v_cmp_le_i64_e32 vcc_lo, s[8:9], v[6:7]
	s_or_b32 s16, vcc_lo, s16
	s_and_not1_b32 exec_lo, exec_lo, s16
	s_cbranch_execz .LBB2_8
.LBB2_5:                                ; =>This Inner Loop Header: Depth=1
	global_load_b32 v8, v[2:3], off
	s_mov_b32 s17, exec_lo
	s_wait_loadcnt 0x0
	v_ashrrev_i32_e32 v9, 31, v8
	s_delay_alu instid0(VALU_DEP_1)
	v_cmpx_ne_u64_e64 s[12:13], v[8:9]
	s_cbranch_execz .LBB2_4
; %bb.6:                                ;   in Loop: Header=BB2_5 Depth=1
	s_and_not1_b32 vcc_lo, exec_lo, s15
	s_cbranch_vccz .LBB2_2
; %bb.7:                                ;   in Loop: Header=BB2_5 Depth=1
	v_mov_b32_e32 v13, 1.0
	s_branch .LBB2_3
.LBB2_8:
	s_or_b32 exec_lo, exec_lo, s14
; %bb.9:
	s_mov_b32 s2, 0
	s_wait_dscnt 0x0
	s_barrier_signal -1
	s_barrier_wait -1
	s_mov_b32 s3, exec_lo
	v_cmpx_eq_u32_e32 0, v0
	s_cbranch_execz .LBB2_13
; %bb.10:
	v_dual_mov_b32 v1, 0 :: v_dual_mov_b32 v0, 0
.LBB2_11:                               ; =>This Inner Loop Header: Depth=1
	v_mov_b32_e32 v22, s2
	s_add_co_i32 s2, s2, 64
	ds_load_b128 v[2:5], v22
	ds_load_b128 v[6:9], v22 offset:1024
	ds_load_b128 v[10:13], v22 offset:16
	;; [unrolled: 1-line block ×3, first 2 shown]
	s_cmp_eq_u32 s2, 0x400
	s_wait_dscnt 0x2
	v_dual_mov_b32 v18, v2 :: v_dual_mov_b32 v19, v6
	v_dual_mov_b32 v6, v3 :: v_dual_mov_b32 v2, v4
	;; [unrolled: 1-line block ×3, first 2 shown]
	s_wait_dscnt 0x1
	v_mov_b32_e32 v20, v10
	v_pk_add_f32 v[0:1], v[0:1], v[18:19]
	s_wait_dscnt 0x0
	v_dual_mov_b32 v21, v14 :: v_dual_mov_b32 v14, v11
	v_dual_mov_b32 v10, v12 :: v_dual_mov_b32 v11, v16
	s_delay_alu instid0(VALU_DEP_3) | instskip(NEXT) | instid1(VALU_DEP_1)
	v_pk_add_f32 v[0:1], v[0:1], v[6:7]
	v_pk_add_f32 v[18:19], v[0:1], v[2:3]
	ds_load_b128 v[0:3], v22 offset:32
	ds_load_b128 v[4:7], v22 offset:1056
	v_mov_b32_e32 v16, v13
	v_pk_add_f32 v[8:9], v[18:19], v[8:9]
	s_delay_alu instid0(VALU_DEP_1) | instskip(NEXT) | instid1(VALU_DEP_1)
	v_pk_add_f32 v[8:9], v[8:9], v[20:21]
	v_pk_add_f32 v[8:9], v[8:9], v[14:15]
	s_wait_dscnt 0x1
	v_mov_b32_e32 v20, v0
	s_delay_alu instid0(VALU_DEP_2)
	v_pk_add_f32 v[18:19], v[8:9], v[10:11]
	ds_load_b128 v[8:11], v22 offset:48
	ds_load_b128 v[12:15], v22 offset:1072
	s_wait_dscnt 0x2
	v_dual_mov_b32 v21, v4 :: v_dual_mov_b32 v4, v1
	v_pk_add_f32 v[16:17], v[18:19], v[16:17]
	s_delay_alu instid0(VALU_DEP_1) | instskip(SKIP_2) | instid1(VALU_DEP_3)
	v_pk_add_f32 v[0:1], v[16:17], v[20:21]
	v_dual_mov_b32 v16, v2 :: v_dual_mov_b32 v17, v6
	v_mov_b32_e32 v6, v3
	v_pk_add_f32 v[0:1], v[0:1], v[4:5]
	s_wait_dscnt 0x1
	v_mov_b32_e32 v2, v8
	s_delay_alu instid0(VALU_DEP_2) | instskip(SKIP_2) | instid1(VALU_DEP_2)
	v_pk_add_f32 v[0:1], v[0:1], v[16:17]
	s_wait_dscnt 0x0
	v_dual_mov_b32 v3, v12 :: v_dual_mov_b32 v12, v9
	v_pk_add_f32 v[0:1], v[0:1], v[6:7]
	s_delay_alu instid0(VALU_DEP_1) | instskip(SKIP_2) | instid1(VALU_DEP_3)
	v_pk_add_f32 v[0:1], v[0:1], v[2:3]
	v_dual_mov_b32 v2, v10 :: v_dual_mov_b32 v3, v14
	v_mov_b32_e32 v14, v11
	v_pk_add_f32 v[0:1], v[0:1], v[12:13]
	s_delay_alu instid0(VALU_DEP_1) | instskip(NEXT) | instid1(VALU_DEP_1)
	v_pk_add_f32 v[0:1], v[0:1], v[2:3]
	v_pk_add_f32 v[0:1], v[0:1], v[14:15]
	s_cbranch_scc0 .LBB2_11
; %bb.12:
	s_delay_alu instid0(VALU_DEP_1)
	v_div_scale_f32 v2, null, v0, v0, v1
	s_load_b32 s0, s[0:1], 0x28
	v_rcp_f32_e32 v3, v2
	v_nop
	v_xor_b32_e32 v2, 0x80000000, v2
	s_delay_alu instid0(TRANS32_DEP_1) | instid1(VALU_DEP_1)
	v_fma_f32 v4, v2, v3, 1.0
	s_delay_alu instid0(VALU_DEP_1) | instskip(SKIP_3) | instid1(VALU_DEP_1)
	v_fmac_f32_e32 v3, v4, v3
	v_div_scale_f32 v4, vcc_lo, v1, v0, v1
	s_wait_kmcnt 0x0
	s_bitcmp1_b32 s0, 0
	v_mul_f32_e32 v5, v4, v3
	s_delay_alu instid0(VALU_DEP_1) | instskip(NEXT) | instid1(VALU_DEP_1)
	v_fma_f32 v6, v2, v5, v4
	v_fmac_f32_e32 v5, v6, v3
	s_delay_alu instid0(VALU_DEP_1) | instskip(NEXT) | instid1(VALU_DEP_1)
	v_fmac_f32_e32 v4, v2, v5
	v_div_fmas_f32 v2, v4, v3, v5
	s_cselect_b32 vcc_lo, -1, 0
	v_mov_b32_e32 v3, 0
	s_delay_alu instid0(VALU_DEP_2) | instskip(NEXT) | instid1(VALU_DEP_1)
	v_div_fixup_f32 v2, v2, v0, v1
	v_cndmask_b32_e32 v1, v1, v2, vcc_lo
	s_clause 0x1
	global_store_b32 v3, v0, s[6:7]
	global_store_b32 v3, v1, s[4:5]
.LBB2_13:
	s_endpgm
	.section	.rodata,"a",@progbits
	.p2align	6, 0x0
	.amdhsa_kernel _Z32nll_loss_forward_reduce2d_kernelIffiLi256EEvPT_S1_PKS0_PKT1_S3_blll
		.amdhsa_group_segment_fixed_size 2048
		.amdhsa_private_segment_fixed_size 0
		.amdhsa_kernarg_size 72
		.amdhsa_user_sgpr_count 2
		.amdhsa_user_sgpr_dispatch_ptr 0
		.amdhsa_user_sgpr_queue_ptr 0
		.amdhsa_user_sgpr_kernarg_segment_ptr 1
		.amdhsa_user_sgpr_dispatch_id 0
		.amdhsa_user_sgpr_kernarg_preload_length 0
		.amdhsa_user_sgpr_kernarg_preload_offset 0
		.amdhsa_user_sgpr_private_segment_size 0
		.amdhsa_wavefront_size32 1
		.amdhsa_uses_dynamic_stack 0
		.amdhsa_enable_private_segment 0
		.amdhsa_system_sgpr_workgroup_id_x 1
		.amdhsa_system_sgpr_workgroup_id_y 0
		.amdhsa_system_sgpr_workgroup_id_z 0
		.amdhsa_system_sgpr_workgroup_info 0
		.amdhsa_system_vgpr_workitem_id 0
		.amdhsa_next_free_vgpr 23
		.amdhsa_next_free_sgpr 20
		.amdhsa_named_barrier_count 0
		.amdhsa_reserve_vcc 1
		.amdhsa_float_round_mode_32 0
		.amdhsa_float_round_mode_16_64 0
		.amdhsa_float_denorm_mode_32 3
		.amdhsa_float_denorm_mode_16_64 3
		.amdhsa_fp16_overflow 0
		.amdhsa_memory_ordered 1
		.amdhsa_forward_progress 1
		.amdhsa_inst_pref_size 8
		.amdhsa_round_robin_scheduling 0
		.amdhsa_exception_fp_ieee_invalid_op 0
		.amdhsa_exception_fp_denorm_src 0
		.amdhsa_exception_fp_ieee_div_zero 0
		.amdhsa_exception_fp_ieee_overflow 0
		.amdhsa_exception_fp_ieee_underflow 0
		.amdhsa_exception_fp_ieee_inexact 0
		.amdhsa_exception_int_div_zero 0
	.end_amdhsa_kernel
	.section	.text._Z32nll_loss_forward_reduce2d_kernelIffiLi256EEvPT_S1_PKS0_PKT1_S3_blll,"axG",@progbits,_Z32nll_loss_forward_reduce2d_kernelIffiLi256EEvPT_S1_PKS0_PKT1_S3_blll,comdat
.Lfunc_end2:
	.size	_Z32nll_loss_forward_reduce2d_kernelIffiLi256EEvPT_S1_PKS0_PKT1_S3_blll, .Lfunc_end2-_Z32nll_loss_forward_reduce2d_kernelIffiLi256EEvPT_S1_PKS0_PKT1_S3_blll
                                        ; -- End function
	.set _Z32nll_loss_forward_reduce2d_kernelIffiLi256EEvPT_S1_PKS0_PKT1_S3_blll.num_vgpr, 23
	.set _Z32nll_loss_forward_reduce2d_kernelIffiLi256EEvPT_S1_PKS0_PKT1_S3_blll.num_agpr, 0
	.set _Z32nll_loss_forward_reduce2d_kernelIffiLi256EEvPT_S1_PKS0_PKT1_S3_blll.numbered_sgpr, 20
	.set _Z32nll_loss_forward_reduce2d_kernelIffiLi256EEvPT_S1_PKS0_PKT1_S3_blll.num_named_barrier, 0
	.set _Z32nll_loss_forward_reduce2d_kernelIffiLi256EEvPT_S1_PKS0_PKT1_S3_blll.private_seg_size, 0
	.set _Z32nll_loss_forward_reduce2d_kernelIffiLi256EEvPT_S1_PKS0_PKT1_S3_blll.uses_vcc, 1
	.set _Z32nll_loss_forward_reduce2d_kernelIffiLi256EEvPT_S1_PKS0_PKT1_S3_blll.uses_flat_scratch, 0
	.set _Z32nll_loss_forward_reduce2d_kernelIffiLi256EEvPT_S1_PKS0_PKT1_S3_blll.has_dyn_sized_stack, 0
	.set _Z32nll_loss_forward_reduce2d_kernelIffiLi256EEvPT_S1_PKS0_PKT1_S3_blll.has_recursion, 0
	.set _Z32nll_loss_forward_reduce2d_kernelIffiLi256EEvPT_S1_PKS0_PKT1_S3_blll.has_indirect_call, 0
	.section	.AMDGPU.csdata,"",@progbits
; Kernel info:
; codeLenInByte = 900
; TotalNumSgprs: 22
; NumVgprs: 23
; ScratchSize: 0
; MemoryBound: 0
; FloatMode: 240
; IeeeMode: 1
; LDSByteSize: 2048 bytes/workgroup (compile time only)
; SGPRBlocks: 0
; VGPRBlocks: 1
; NumSGPRsForWavesPerEU: 22
; NumVGPRsForWavesPerEU: 23
; NamedBarCnt: 0
; Occupancy: 16
; WaveLimiterHint : 1
; COMPUTE_PGM_RSRC2:SCRATCH_EN: 0
; COMPUTE_PGM_RSRC2:USER_SGPR: 2
; COMPUTE_PGM_RSRC2:TRAP_HANDLER: 0
; COMPUTE_PGM_RSRC2:TGID_X_EN: 1
; COMPUTE_PGM_RSRC2:TGID_Y_EN: 0
; COMPUTE_PGM_RSRC2:TGID_Z_EN: 0
; COMPUTE_PGM_RSRC2:TIDIG_COMP_CNT: 0
	.section	.text._Z32nll_loss_forward_reduce2d_kernelIffiLi512EEvPT_S1_PKS0_PKT1_S3_blll,"axG",@progbits,_Z32nll_loss_forward_reduce2d_kernelIffiLi512EEvPT_S1_PKS0_PKT1_S3_blll,comdat
	.protected	_Z32nll_loss_forward_reduce2d_kernelIffiLi512EEvPT_S1_PKS0_PKT1_S3_blll ; -- Begin function _Z32nll_loss_forward_reduce2d_kernelIffiLi512EEvPT_S1_PKS0_PKT1_S3_blll
	.globl	_Z32nll_loss_forward_reduce2d_kernelIffiLi512EEvPT_S1_PKS0_PKT1_S3_blll
	.p2align	8
	.type	_Z32nll_loss_forward_reduce2d_kernelIffiLi512EEvPT_S1_PKS0_PKT1_S3_blll,@function
_Z32nll_loss_forward_reduce2d_kernelIffiLi512EEvPT_S1_PKS0_PKT1_S3_blll: ; @_Z32nll_loss_forward_reduce2d_kernelIffiLi512EEvPT_S1_PKS0_PKT1_S3_blll
; %bb.0:
	s_clause 0x1
	s_load_b128 s[8:11], s[0:1], 0x30
	s_load_b128 s[4:7], s[0:1], 0x0
	v_dual_mov_b32 v1, 0 :: v_dual_lshlrev_b32 v10, 2, v0
	s_mov_b32 s14, exec_lo
	ds_store_2addr_stride64_b32 v10, v1, v1 offset1:8
	s_wait_kmcnt 0x0
	v_cmpx_gt_i64_e64 s[8:9], v[0:1]
	s_cbranch_execz .LBB3_8
; %bb.1:
	v_mul_u64_e32 v[4:5], s[10:11], v[0:1]
	s_clause 0x2
	s_load_b64 s[2:3], s[0:1], 0x20
	s_load_b128 s[16:19], s[0:1], 0x10
	s_load_b64 s[12:13], s[0:1], 0x40
	v_dual_mov_b32 v3, v1 :: v_dual_lshlrev_b32 v2, 2, v0
	v_mov_b64_e32 v[6:7], v[0:1]
	v_dual_mov_b32 v12, v1 :: v_dual_add_nc_u32 v11, 0x800, v10
	s_wait_kmcnt 0x0
	s_cmp_lg_u64 s[2:3], 0
	v_add_nc_u64_e32 v[2:3], s[18:19], v[2:3]
	s_cselect_b32 s15, -1, 0
	s_lshl_b64 s[10:11], s[10:11], 11
	v_lshl_add_u64 v[4:5], v[4:5], 2, s[16:17]
	s_mov_b32 s16, 0
	s_branch .LBB3_5
.LBB3_2:                                ;   in Loop: Header=BB3_5 Depth=1
	v_lshl_add_u64 v[14:15], v[8:9], 2, s[2:3]
	global_load_b32 v13, v[14:15], off
.LBB3_3:                                ;   in Loop: Header=BB3_5 Depth=1
	v_lshl_add_u64 v[8:9], v[8:9], 2, v[4:5]
	s_wait_loadcnt 0x0
	s_delay_alu instid0(VALU_DEP_2)
	v_add_f32_e32 v1, v13, v1
	global_load_b32 v8, v[8:9], off
	s_wait_loadcnt 0x0
	v_fma_f32 v12, -v13, v8, v12
	ds_store_b32 v11, v12
	ds_store_b32 v10, v1
.LBB3_4:                                ;   in Loop: Header=BB3_5 Depth=1
	s_or_b32 exec_lo, exec_lo, s17
	v_add_nc_u64_e32 v[6:7], 0x200, v[6:7]
	v_add_nc_u64_e32 v[4:5], s[10:11], v[4:5]
	v_add_nc_u64_e32 v[2:3], 0x800, v[2:3]
	s_delay_alu instid0(VALU_DEP_3) | instskip(SKIP_1) | instid1(SALU_CYCLE_1)
	v_cmp_le_i64_e32 vcc_lo, s[8:9], v[6:7]
	s_or_b32 s16, vcc_lo, s16
	s_and_not1_b32 exec_lo, exec_lo, s16
	s_cbranch_execz .LBB3_8
.LBB3_5:                                ; =>This Inner Loop Header: Depth=1
	global_load_b32 v8, v[2:3], off
	s_mov_b32 s17, exec_lo
	s_wait_loadcnt 0x0
	v_ashrrev_i32_e32 v9, 31, v8
	s_delay_alu instid0(VALU_DEP_1)
	v_cmpx_ne_u64_e64 s[12:13], v[8:9]
	s_cbranch_execz .LBB3_4
; %bb.6:                                ;   in Loop: Header=BB3_5 Depth=1
	s_and_not1_b32 vcc_lo, exec_lo, s15
	s_cbranch_vccz .LBB3_2
; %bb.7:                                ;   in Loop: Header=BB3_5 Depth=1
	v_mov_b32_e32 v13, 1.0
	s_branch .LBB3_3
.LBB3_8:
	s_or_b32 exec_lo, exec_lo, s14
; %bb.9:
	s_mov_b32 s2, 0
	s_wait_dscnt 0x0
	s_barrier_signal -1
	s_barrier_wait -1
	s_mov_b32 s3, exec_lo
	v_cmpx_eq_u32_e32 0, v0
	s_cbranch_execz .LBB3_13
; %bb.10:
	v_dual_mov_b32 v1, 0 :: v_dual_mov_b32 v0, 0
.LBB3_11:                               ; =>This Inner Loop Header: Depth=1
	v_mov_b32_e32 v22, s2
	s_add_co_i32 s2, s2, 64
	ds_load_b128 v[2:5], v22
	ds_load_b128 v[6:9], v22 offset:2048
	ds_load_b128 v[10:13], v22 offset:16
	;; [unrolled: 1-line block ×3, first 2 shown]
	s_cmp_eq_u32 s2, 0x800
	s_wait_dscnt 0x2
	v_dual_mov_b32 v18, v2 :: v_dual_mov_b32 v19, v6
	v_dual_mov_b32 v6, v3 :: v_dual_mov_b32 v2, v4
	;; [unrolled: 1-line block ×3, first 2 shown]
	s_wait_dscnt 0x1
	v_mov_b32_e32 v20, v10
	v_pk_add_f32 v[0:1], v[0:1], v[18:19]
	s_wait_dscnt 0x0
	v_dual_mov_b32 v21, v14 :: v_dual_mov_b32 v14, v11
	v_dual_mov_b32 v10, v12 :: v_dual_mov_b32 v11, v16
	s_delay_alu instid0(VALU_DEP_3) | instskip(NEXT) | instid1(VALU_DEP_1)
	v_pk_add_f32 v[0:1], v[0:1], v[6:7]
	v_pk_add_f32 v[18:19], v[0:1], v[2:3]
	ds_load_b128 v[0:3], v22 offset:32
	ds_load_b128 v[4:7], v22 offset:2080
	v_mov_b32_e32 v16, v13
	v_pk_add_f32 v[8:9], v[18:19], v[8:9]
	s_delay_alu instid0(VALU_DEP_1) | instskip(NEXT) | instid1(VALU_DEP_1)
	v_pk_add_f32 v[8:9], v[8:9], v[20:21]
	v_pk_add_f32 v[8:9], v[8:9], v[14:15]
	s_wait_dscnt 0x1
	v_mov_b32_e32 v20, v0
	s_delay_alu instid0(VALU_DEP_2)
	v_pk_add_f32 v[18:19], v[8:9], v[10:11]
	ds_load_b128 v[8:11], v22 offset:48
	ds_load_b128 v[12:15], v22 offset:2096
	s_wait_dscnt 0x2
	v_dual_mov_b32 v21, v4 :: v_dual_mov_b32 v4, v1
	v_pk_add_f32 v[16:17], v[18:19], v[16:17]
	s_delay_alu instid0(VALU_DEP_1) | instskip(SKIP_2) | instid1(VALU_DEP_3)
	v_pk_add_f32 v[0:1], v[16:17], v[20:21]
	v_dual_mov_b32 v16, v2 :: v_dual_mov_b32 v17, v6
	v_mov_b32_e32 v6, v3
	v_pk_add_f32 v[0:1], v[0:1], v[4:5]
	s_wait_dscnt 0x1
	v_mov_b32_e32 v2, v8
	s_delay_alu instid0(VALU_DEP_2) | instskip(SKIP_2) | instid1(VALU_DEP_2)
	v_pk_add_f32 v[0:1], v[0:1], v[16:17]
	s_wait_dscnt 0x0
	v_dual_mov_b32 v3, v12 :: v_dual_mov_b32 v12, v9
	v_pk_add_f32 v[0:1], v[0:1], v[6:7]
	s_delay_alu instid0(VALU_DEP_1) | instskip(SKIP_2) | instid1(VALU_DEP_3)
	v_pk_add_f32 v[0:1], v[0:1], v[2:3]
	v_dual_mov_b32 v2, v10 :: v_dual_mov_b32 v3, v14
	v_mov_b32_e32 v14, v11
	v_pk_add_f32 v[0:1], v[0:1], v[12:13]
	s_delay_alu instid0(VALU_DEP_1) | instskip(NEXT) | instid1(VALU_DEP_1)
	v_pk_add_f32 v[0:1], v[0:1], v[2:3]
	v_pk_add_f32 v[0:1], v[0:1], v[14:15]
	s_cbranch_scc0 .LBB3_11
; %bb.12:
	s_delay_alu instid0(VALU_DEP_1)
	v_div_scale_f32 v2, null, v0, v0, v1
	s_load_b32 s0, s[0:1], 0x28
	v_rcp_f32_e32 v3, v2
	v_nop
	v_xor_b32_e32 v2, 0x80000000, v2
	s_delay_alu instid0(TRANS32_DEP_1) | instid1(VALU_DEP_1)
	v_fma_f32 v4, v2, v3, 1.0
	s_delay_alu instid0(VALU_DEP_1) | instskip(SKIP_3) | instid1(VALU_DEP_1)
	v_fmac_f32_e32 v3, v4, v3
	v_div_scale_f32 v4, vcc_lo, v1, v0, v1
	s_wait_kmcnt 0x0
	s_bitcmp1_b32 s0, 0
	v_mul_f32_e32 v5, v4, v3
	s_delay_alu instid0(VALU_DEP_1) | instskip(NEXT) | instid1(VALU_DEP_1)
	v_fma_f32 v6, v2, v5, v4
	v_fmac_f32_e32 v5, v6, v3
	s_delay_alu instid0(VALU_DEP_1) | instskip(NEXT) | instid1(VALU_DEP_1)
	v_fmac_f32_e32 v4, v2, v5
	v_div_fmas_f32 v2, v4, v3, v5
	s_cselect_b32 vcc_lo, -1, 0
	v_mov_b32_e32 v3, 0
	s_delay_alu instid0(VALU_DEP_2) | instskip(NEXT) | instid1(VALU_DEP_1)
	v_div_fixup_f32 v2, v2, v0, v1
	v_cndmask_b32_e32 v1, v1, v2, vcc_lo
	s_clause 0x1
	global_store_b32 v3, v0, s[6:7]
	global_store_b32 v3, v1, s[4:5]
.LBB3_13:
	s_endpgm
	.section	.rodata,"a",@progbits
	.p2align	6, 0x0
	.amdhsa_kernel _Z32nll_loss_forward_reduce2d_kernelIffiLi512EEvPT_S1_PKS0_PKT1_S3_blll
		.amdhsa_group_segment_fixed_size 4096
		.amdhsa_private_segment_fixed_size 0
		.amdhsa_kernarg_size 72
		.amdhsa_user_sgpr_count 2
		.amdhsa_user_sgpr_dispatch_ptr 0
		.amdhsa_user_sgpr_queue_ptr 0
		.amdhsa_user_sgpr_kernarg_segment_ptr 1
		.amdhsa_user_sgpr_dispatch_id 0
		.amdhsa_user_sgpr_kernarg_preload_length 0
		.amdhsa_user_sgpr_kernarg_preload_offset 0
		.amdhsa_user_sgpr_private_segment_size 0
		.amdhsa_wavefront_size32 1
		.amdhsa_uses_dynamic_stack 0
		.amdhsa_enable_private_segment 0
		.amdhsa_system_sgpr_workgroup_id_x 1
		.amdhsa_system_sgpr_workgroup_id_y 0
		.amdhsa_system_sgpr_workgroup_id_z 0
		.amdhsa_system_sgpr_workgroup_info 0
		.amdhsa_system_vgpr_workitem_id 0
		.amdhsa_next_free_vgpr 23
		.amdhsa_next_free_sgpr 20
		.amdhsa_named_barrier_count 0
		.amdhsa_reserve_vcc 1
		.amdhsa_float_round_mode_32 0
		.amdhsa_float_round_mode_16_64 0
		.amdhsa_float_denorm_mode_32 3
		.amdhsa_float_denorm_mode_16_64 3
		.amdhsa_fp16_overflow 0
		.amdhsa_memory_ordered 1
		.amdhsa_forward_progress 1
		.amdhsa_inst_pref_size 8
		.amdhsa_round_robin_scheduling 0
		.amdhsa_exception_fp_ieee_invalid_op 0
		.amdhsa_exception_fp_denorm_src 0
		.amdhsa_exception_fp_ieee_div_zero 0
		.amdhsa_exception_fp_ieee_overflow 0
		.amdhsa_exception_fp_ieee_underflow 0
		.amdhsa_exception_fp_ieee_inexact 0
		.amdhsa_exception_int_div_zero 0
	.end_amdhsa_kernel
	.section	.text._Z32nll_loss_forward_reduce2d_kernelIffiLi512EEvPT_S1_PKS0_PKT1_S3_blll,"axG",@progbits,_Z32nll_loss_forward_reduce2d_kernelIffiLi512EEvPT_S1_PKS0_PKT1_S3_blll,comdat
.Lfunc_end3:
	.size	_Z32nll_loss_forward_reduce2d_kernelIffiLi512EEvPT_S1_PKS0_PKT1_S3_blll, .Lfunc_end3-_Z32nll_loss_forward_reduce2d_kernelIffiLi512EEvPT_S1_PKS0_PKT1_S3_blll
                                        ; -- End function
	.set _Z32nll_loss_forward_reduce2d_kernelIffiLi512EEvPT_S1_PKS0_PKT1_S3_blll.num_vgpr, 23
	.set _Z32nll_loss_forward_reduce2d_kernelIffiLi512EEvPT_S1_PKS0_PKT1_S3_blll.num_agpr, 0
	.set _Z32nll_loss_forward_reduce2d_kernelIffiLi512EEvPT_S1_PKS0_PKT1_S3_blll.numbered_sgpr, 20
	.set _Z32nll_loss_forward_reduce2d_kernelIffiLi512EEvPT_S1_PKS0_PKT1_S3_blll.num_named_barrier, 0
	.set _Z32nll_loss_forward_reduce2d_kernelIffiLi512EEvPT_S1_PKS0_PKT1_S3_blll.private_seg_size, 0
	.set _Z32nll_loss_forward_reduce2d_kernelIffiLi512EEvPT_S1_PKS0_PKT1_S3_blll.uses_vcc, 1
	.set _Z32nll_loss_forward_reduce2d_kernelIffiLi512EEvPT_S1_PKS0_PKT1_S3_blll.uses_flat_scratch, 0
	.set _Z32nll_loss_forward_reduce2d_kernelIffiLi512EEvPT_S1_PKS0_PKT1_S3_blll.has_dyn_sized_stack, 0
	.set _Z32nll_loss_forward_reduce2d_kernelIffiLi512EEvPT_S1_PKS0_PKT1_S3_blll.has_recursion, 0
	.set _Z32nll_loss_forward_reduce2d_kernelIffiLi512EEvPT_S1_PKS0_PKT1_S3_blll.has_indirect_call, 0
	.section	.AMDGPU.csdata,"",@progbits
; Kernel info:
; codeLenInByte = 900
; TotalNumSgprs: 22
; NumVgprs: 23
; ScratchSize: 0
; MemoryBound: 0
; FloatMode: 240
; IeeeMode: 1
; LDSByteSize: 4096 bytes/workgroup (compile time only)
; SGPRBlocks: 0
; VGPRBlocks: 1
; NumSGPRsForWavesPerEU: 22
; NumVGPRsForWavesPerEU: 23
; NamedBarCnt: 0
; Occupancy: 16
; WaveLimiterHint : 1
; COMPUTE_PGM_RSRC2:SCRATCH_EN: 0
; COMPUTE_PGM_RSRC2:USER_SGPR: 2
; COMPUTE_PGM_RSRC2:TRAP_HANDLER: 0
; COMPUTE_PGM_RSRC2:TGID_X_EN: 1
; COMPUTE_PGM_RSRC2:TGID_Y_EN: 0
; COMPUTE_PGM_RSRC2:TGID_Z_EN: 0
; COMPUTE_PGM_RSRC2:TIDIG_COMP_CNT: 0
	.section	.text._Z32nll_loss_forward_reduce2d_kernelIffiLi1024EEvPT_S1_PKS0_PKT1_S3_blll,"axG",@progbits,_Z32nll_loss_forward_reduce2d_kernelIffiLi1024EEvPT_S1_PKS0_PKT1_S3_blll,comdat
	.protected	_Z32nll_loss_forward_reduce2d_kernelIffiLi1024EEvPT_S1_PKS0_PKT1_S3_blll ; -- Begin function _Z32nll_loss_forward_reduce2d_kernelIffiLi1024EEvPT_S1_PKS0_PKT1_S3_blll
	.globl	_Z32nll_loss_forward_reduce2d_kernelIffiLi1024EEvPT_S1_PKS0_PKT1_S3_blll
	.p2align	8
	.type	_Z32nll_loss_forward_reduce2d_kernelIffiLi1024EEvPT_S1_PKS0_PKT1_S3_blll,@function
_Z32nll_loss_forward_reduce2d_kernelIffiLi1024EEvPT_S1_PKS0_PKT1_S3_blll: ; @_Z32nll_loss_forward_reduce2d_kernelIffiLi1024EEvPT_S1_PKS0_PKT1_S3_blll
; %bb.0:
	s_clause 0x1
	s_load_b128 s[8:11], s[0:1], 0x30
	s_load_b128 s[4:7], s[0:1], 0x0
	v_dual_mov_b32 v1, 0 :: v_dual_lshlrev_b32 v10, 2, v0
	s_mov_b32 s14, exec_lo
	ds_store_2addr_stride64_b32 v10, v1, v1 offset1:16
	s_wait_kmcnt 0x0
	v_cmpx_gt_i64_e64 s[8:9], v[0:1]
	s_cbranch_execz .LBB4_8
; %bb.1:
	v_mul_u64_e32 v[4:5], s[10:11], v[0:1]
	s_clause 0x2
	s_load_b64 s[2:3], s[0:1], 0x20
	s_load_b128 s[16:19], s[0:1], 0x10
	s_load_b64 s[12:13], s[0:1], 0x40
	v_dual_mov_b32 v3, v1 :: v_dual_lshlrev_b32 v2, 2, v0
	v_mov_b64_e32 v[6:7], v[0:1]
	v_or_b32_e32 v11, 0x1000, v10
	v_mov_b32_e32 v12, v1
	s_wait_kmcnt 0x0
	s_cmp_lg_u64 s[2:3], 0
	v_add_nc_u64_e32 v[2:3], s[18:19], v[2:3]
	s_cselect_b32 s15, -1, 0
	s_lshl_b64 s[10:11], s[10:11], 12
	v_lshl_add_u64 v[4:5], v[4:5], 2, s[16:17]
	s_mov_b32 s16, 0
	s_branch .LBB4_5
.LBB4_2:                                ;   in Loop: Header=BB4_5 Depth=1
	v_lshl_add_u64 v[14:15], v[8:9], 2, s[2:3]
	global_load_b32 v13, v[14:15], off
.LBB4_3:                                ;   in Loop: Header=BB4_5 Depth=1
	v_lshl_add_u64 v[8:9], v[8:9], 2, v[4:5]
	s_wait_loadcnt 0x0
	s_delay_alu instid0(VALU_DEP_2)
	v_add_f32_e32 v1, v13, v1
	global_load_b32 v8, v[8:9], off
	s_wait_loadcnt 0x0
	v_fma_f32 v12, -v13, v8, v12
	ds_store_b32 v11, v12
	ds_store_b32 v10, v1
.LBB4_4:                                ;   in Loop: Header=BB4_5 Depth=1
	s_or_b32 exec_lo, exec_lo, s17
	v_add_nc_u64_e32 v[6:7], 0x400, v[6:7]
	v_add_nc_u64_e32 v[4:5], s[10:11], v[4:5]
	;; [unrolled: 1-line block ×3, first 2 shown]
	s_delay_alu instid0(VALU_DEP_3) | instskip(SKIP_1) | instid1(SALU_CYCLE_1)
	v_cmp_le_i64_e32 vcc_lo, s[8:9], v[6:7]
	s_or_b32 s16, vcc_lo, s16
	s_and_not1_b32 exec_lo, exec_lo, s16
	s_cbranch_execz .LBB4_8
.LBB4_5:                                ; =>This Inner Loop Header: Depth=1
	global_load_b32 v8, v[2:3], off
	s_mov_b32 s17, exec_lo
	s_wait_loadcnt 0x0
	v_ashrrev_i32_e32 v9, 31, v8
	s_delay_alu instid0(VALU_DEP_1)
	v_cmpx_ne_u64_e64 s[12:13], v[8:9]
	s_cbranch_execz .LBB4_4
; %bb.6:                                ;   in Loop: Header=BB4_5 Depth=1
	s_and_not1_b32 vcc_lo, exec_lo, s15
	s_cbranch_vccz .LBB4_2
; %bb.7:                                ;   in Loop: Header=BB4_5 Depth=1
	v_mov_b32_e32 v13, 1.0
	s_branch .LBB4_3
.LBB4_8:
	s_or_b32 exec_lo, exec_lo, s14
; %bb.9:
	s_mov_b32 s2, 0
	s_wait_dscnt 0x0
	s_barrier_signal -1
	s_barrier_wait -1
	s_mov_b32 s3, exec_lo
	v_cmpx_eq_u32_e32 0, v0
	s_cbranch_execz .LBB4_13
; %bb.10:
	v_dual_mov_b32 v1, 0 :: v_dual_mov_b32 v0, 0
.LBB4_11:                               ; =>This Inner Loop Header: Depth=1
	v_mov_b32_e32 v22, s2
	s_add_co_i32 s2, s2, 64
	ds_load_b128 v[2:5], v22
	ds_load_b128 v[6:9], v22 offset:4096
	ds_load_b128 v[10:13], v22 offset:16
	;; [unrolled: 1-line block ×3, first 2 shown]
	s_cmp_eq_u32 s2, 0x1000
	s_wait_dscnt 0x2
	v_dual_mov_b32 v18, v2 :: v_dual_mov_b32 v19, v6
	v_dual_mov_b32 v6, v3 :: v_dual_mov_b32 v2, v4
	;; [unrolled: 1-line block ×3, first 2 shown]
	s_wait_dscnt 0x1
	v_mov_b32_e32 v20, v10
	v_pk_add_f32 v[0:1], v[0:1], v[18:19]
	s_wait_dscnt 0x0
	v_dual_mov_b32 v21, v14 :: v_dual_mov_b32 v14, v11
	v_dual_mov_b32 v10, v12 :: v_dual_mov_b32 v11, v16
	s_delay_alu instid0(VALU_DEP_3) | instskip(NEXT) | instid1(VALU_DEP_1)
	v_pk_add_f32 v[0:1], v[0:1], v[6:7]
	v_pk_add_f32 v[18:19], v[0:1], v[2:3]
	ds_load_b128 v[0:3], v22 offset:32
	ds_load_b128 v[4:7], v22 offset:4128
	v_mov_b32_e32 v16, v13
	v_pk_add_f32 v[8:9], v[18:19], v[8:9]
	s_delay_alu instid0(VALU_DEP_1) | instskip(NEXT) | instid1(VALU_DEP_1)
	v_pk_add_f32 v[8:9], v[8:9], v[20:21]
	v_pk_add_f32 v[8:9], v[8:9], v[14:15]
	s_wait_dscnt 0x1
	v_mov_b32_e32 v20, v0
	s_delay_alu instid0(VALU_DEP_2)
	v_pk_add_f32 v[18:19], v[8:9], v[10:11]
	ds_load_b128 v[8:11], v22 offset:48
	ds_load_b128 v[12:15], v22 offset:4144
	s_wait_dscnt 0x2
	v_dual_mov_b32 v21, v4 :: v_dual_mov_b32 v4, v1
	v_pk_add_f32 v[16:17], v[18:19], v[16:17]
	s_delay_alu instid0(VALU_DEP_1) | instskip(SKIP_2) | instid1(VALU_DEP_3)
	v_pk_add_f32 v[0:1], v[16:17], v[20:21]
	v_dual_mov_b32 v16, v2 :: v_dual_mov_b32 v17, v6
	v_mov_b32_e32 v6, v3
	v_pk_add_f32 v[0:1], v[0:1], v[4:5]
	s_wait_dscnt 0x1
	v_mov_b32_e32 v2, v8
	s_delay_alu instid0(VALU_DEP_2) | instskip(SKIP_2) | instid1(VALU_DEP_2)
	v_pk_add_f32 v[0:1], v[0:1], v[16:17]
	s_wait_dscnt 0x0
	v_dual_mov_b32 v3, v12 :: v_dual_mov_b32 v12, v9
	v_pk_add_f32 v[0:1], v[0:1], v[6:7]
	s_delay_alu instid0(VALU_DEP_1) | instskip(SKIP_2) | instid1(VALU_DEP_3)
	v_pk_add_f32 v[0:1], v[0:1], v[2:3]
	v_dual_mov_b32 v2, v10 :: v_dual_mov_b32 v3, v14
	v_mov_b32_e32 v14, v11
	v_pk_add_f32 v[0:1], v[0:1], v[12:13]
	s_delay_alu instid0(VALU_DEP_1) | instskip(NEXT) | instid1(VALU_DEP_1)
	v_pk_add_f32 v[0:1], v[0:1], v[2:3]
	v_pk_add_f32 v[0:1], v[0:1], v[14:15]
	s_cbranch_scc0 .LBB4_11
; %bb.12:
	s_delay_alu instid0(VALU_DEP_1)
	v_div_scale_f32 v2, null, v0, v0, v1
	s_load_b32 s0, s[0:1], 0x28
	v_rcp_f32_e32 v3, v2
	v_nop
	v_xor_b32_e32 v2, 0x80000000, v2
	s_delay_alu instid0(TRANS32_DEP_1) | instid1(VALU_DEP_1)
	v_fma_f32 v4, v2, v3, 1.0
	s_delay_alu instid0(VALU_DEP_1) | instskip(SKIP_3) | instid1(VALU_DEP_1)
	v_fmac_f32_e32 v3, v4, v3
	v_div_scale_f32 v4, vcc_lo, v1, v0, v1
	s_wait_kmcnt 0x0
	s_bitcmp1_b32 s0, 0
	v_mul_f32_e32 v5, v4, v3
	s_delay_alu instid0(VALU_DEP_1) | instskip(NEXT) | instid1(VALU_DEP_1)
	v_fma_f32 v6, v2, v5, v4
	v_fmac_f32_e32 v5, v6, v3
	s_delay_alu instid0(VALU_DEP_1) | instskip(NEXT) | instid1(VALU_DEP_1)
	v_fmac_f32_e32 v4, v2, v5
	v_div_fmas_f32 v2, v4, v3, v5
	s_cselect_b32 vcc_lo, -1, 0
	v_mov_b32_e32 v3, 0
	s_delay_alu instid0(VALU_DEP_2) | instskip(NEXT) | instid1(VALU_DEP_1)
	v_div_fixup_f32 v2, v2, v0, v1
	v_cndmask_b32_e32 v1, v1, v2, vcc_lo
	s_clause 0x1
	global_store_b32 v3, v0, s[6:7]
	global_store_b32 v3, v1, s[4:5]
.LBB4_13:
	s_endpgm
	.section	.rodata,"a",@progbits
	.p2align	6, 0x0
	.amdhsa_kernel _Z32nll_loss_forward_reduce2d_kernelIffiLi1024EEvPT_S1_PKS0_PKT1_S3_blll
		.amdhsa_group_segment_fixed_size 8192
		.amdhsa_private_segment_fixed_size 0
		.amdhsa_kernarg_size 72
		.amdhsa_user_sgpr_count 2
		.amdhsa_user_sgpr_dispatch_ptr 0
		.amdhsa_user_sgpr_queue_ptr 0
		.amdhsa_user_sgpr_kernarg_segment_ptr 1
		.amdhsa_user_sgpr_dispatch_id 0
		.amdhsa_user_sgpr_kernarg_preload_length 0
		.amdhsa_user_sgpr_kernarg_preload_offset 0
		.amdhsa_user_sgpr_private_segment_size 0
		.amdhsa_wavefront_size32 1
		.amdhsa_uses_dynamic_stack 0
		.amdhsa_enable_private_segment 0
		.amdhsa_system_sgpr_workgroup_id_x 1
		.amdhsa_system_sgpr_workgroup_id_y 0
		.amdhsa_system_sgpr_workgroup_id_z 0
		.amdhsa_system_sgpr_workgroup_info 0
		.amdhsa_system_vgpr_workitem_id 0
		.amdhsa_next_free_vgpr 23
		.amdhsa_next_free_sgpr 20
		.amdhsa_named_barrier_count 0
		.amdhsa_reserve_vcc 1
		.amdhsa_float_round_mode_32 0
		.amdhsa_float_round_mode_16_64 0
		.amdhsa_float_denorm_mode_32 3
		.amdhsa_float_denorm_mode_16_64 3
		.amdhsa_fp16_overflow 0
		.amdhsa_memory_ordered 1
		.amdhsa_forward_progress 1
		.amdhsa_inst_pref_size 8
		.amdhsa_round_robin_scheduling 0
		.amdhsa_exception_fp_ieee_invalid_op 0
		.amdhsa_exception_fp_denorm_src 0
		.amdhsa_exception_fp_ieee_div_zero 0
		.amdhsa_exception_fp_ieee_overflow 0
		.amdhsa_exception_fp_ieee_underflow 0
		.amdhsa_exception_fp_ieee_inexact 0
		.amdhsa_exception_int_div_zero 0
	.end_amdhsa_kernel
	.section	.text._Z32nll_loss_forward_reduce2d_kernelIffiLi1024EEvPT_S1_PKS0_PKT1_S3_blll,"axG",@progbits,_Z32nll_loss_forward_reduce2d_kernelIffiLi1024EEvPT_S1_PKS0_PKT1_S3_blll,comdat
.Lfunc_end4:
	.size	_Z32nll_loss_forward_reduce2d_kernelIffiLi1024EEvPT_S1_PKS0_PKT1_S3_blll, .Lfunc_end4-_Z32nll_loss_forward_reduce2d_kernelIffiLi1024EEvPT_S1_PKS0_PKT1_S3_blll
                                        ; -- End function
	.set _Z32nll_loss_forward_reduce2d_kernelIffiLi1024EEvPT_S1_PKS0_PKT1_S3_blll.num_vgpr, 23
	.set _Z32nll_loss_forward_reduce2d_kernelIffiLi1024EEvPT_S1_PKS0_PKT1_S3_blll.num_agpr, 0
	.set _Z32nll_loss_forward_reduce2d_kernelIffiLi1024EEvPT_S1_PKS0_PKT1_S3_blll.numbered_sgpr, 20
	.set _Z32nll_loss_forward_reduce2d_kernelIffiLi1024EEvPT_S1_PKS0_PKT1_S3_blll.num_named_barrier, 0
	.set _Z32nll_loss_forward_reduce2d_kernelIffiLi1024EEvPT_S1_PKS0_PKT1_S3_blll.private_seg_size, 0
	.set _Z32nll_loss_forward_reduce2d_kernelIffiLi1024EEvPT_S1_PKS0_PKT1_S3_blll.uses_vcc, 1
	.set _Z32nll_loss_forward_reduce2d_kernelIffiLi1024EEvPT_S1_PKS0_PKT1_S3_blll.uses_flat_scratch, 0
	.set _Z32nll_loss_forward_reduce2d_kernelIffiLi1024EEvPT_S1_PKS0_PKT1_S3_blll.has_dyn_sized_stack, 0
	.set _Z32nll_loss_forward_reduce2d_kernelIffiLi1024EEvPT_S1_PKS0_PKT1_S3_blll.has_recursion, 0
	.set _Z32nll_loss_forward_reduce2d_kernelIffiLi1024EEvPT_S1_PKS0_PKT1_S3_blll.has_indirect_call, 0
	.section	.AMDGPU.csdata,"",@progbits
; Kernel info:
; codeLenInByte = 900
; TotalNumSgprs: 22
; NumVgprs: 23
; ScratchSize: 0
; MemoryBound: 0
; FloatMode: 240
; IeeeMode: 1
; LDSByteSize: 8192 bytes/workgroup (compile time only)
; SGPRBlocks: 0
; VGPRBlocks: 1
; NumSGPRsForWavesPerEU: 22
; NumVGPRsForWavesPerEU: 23
; NamedBarCnt: 0
; Occupancy: 16
; WaveLimiterHint : 1
; COMPUTE_PGM_RSRC2:SCRATCH_EN: 0
; COMPUTE_PGM_RSRC2:USER_SGPR: 2
; COMPUTE_PGM_RSRC2:TRAP_HANDLER: 0
; COMPUTE_PGM_RSRC2:TGID_X_EN: 1
; COMPUTE_PGM_RSRC2:TGID_Y_EN: 0
; COMPUTE_PGM_RSRC2:TGID_Z_EN: 0
; COMPUTE_PGM_RSRC2:TIDIG_COMP_CNT: 0
	.section	.text._Z32nll_loss_forward_reduce2d_kernelI6__halfS0_iLi64EEvPT_S2_PKS1_PKT1_S4_blll,"axG",@progbits,_Z32nll_loss_forward_reduce2d_kernelI6__halfS0_iLi64EEvPT_S2_PKS1_PKT1_S4_blll,comdat
	.protected	_Z32nll_loss_forward_reduce2d_kernelI6__halfS0_iLi64EEvPT_S2_PKS1_PKT1_S4_blll ; -- Begin function _Z32nll_loss_forward_reduce2d_kernelI6__halfS0_iLi64EEvPT_S2_PKS1_PKT1_S4_blll
	.globl	_Z32nll_loss_forward_reduce2d_kernelI6__halfS0_iLi64EEvPT_S2_PKS1_PKT1_S4_blll
	.p2align	8
	.type	_Z32nll_loss_forward_reduce2d_kernelI6__halfS0_iLi64EEvPT_S2_PKS1_PKT1_S4_blll,@function
_Z32nll_loss_forward_reduce2d_kernelI6__halfS0_iLi64EEvPT_S2_PKS1_PKT1_S4_blll: ; @_Z32nll_loss_forward_reduce2d_kernelI6__halfS0_iLi64EEvPT_S2_PKS1_PKT1_S4_blll
; %bb.0:
	s_clause 0x1
	s_load_b128 s[8:11], s[0:1], 0x30
	s_load_b128 s[4:7], s[0:1], 0x0
	v_dual_mov_b32 v1, 0 :: v_dual_lshlrev_b32 v10, 1, v0
	s_mov_b32 s14, exec_lo
	ds_store_b16 v10, v1 offset:128
	ds_store_b16 v10, v1
	s_wait_kmcnt 0x0
	v_cmpx_gt_i64_e64 s[8:9], v[0:1]
	s_cbranch_execz .LBB5_8
; %bb.1:
	v_mul_u64_e32 v[4:5], s[10:11], v[0:1]
	s_clause 0x2
	s_load_b64 s[2:3], s[0:1], 0x20
	s_load_b128 s[16:19], s[0:1], 0x10
	s_load_b64 s[12:13], s[0:1], 0x40
	v_dual_mov_b32 v3, v1 :: v_dual_lshlrev_b32 v2, 2, v0
	v_mov_b64_e32 v[6:7], v[0:1]
	v_dual_mov_b32 v12, v1 :: v_dual_add_nc_u32 v11, 0x80, v10
	s_wait_kmcnt 0x0
	s_cmp_lg_u64 s[2:3], 0
	v_add_nc_u64_e32 v[2:3], s[18:19], v[2:3]
	s_cselect_b32 s15, -1, 0
	s_lshl_b64 s[10:11], s[10:11], 7
	v_lshl_add_u64 v[4:5], v[4:5], 1, s[16:17]
	s_mov_b32 s16, 0
	s_branch .LBB5_5
.LBB5_2:                                ;   in Loop: Header=BB5_5 Depth=1
	v_lshl_add_u64 v[14:15], v[8:9], 1, s[2:3]
	global_load_u16 v13, v[14:15], off
.LBB5_3:                                ;   in Loop: Header=BB5_5 Depth=1
	v_lshl_add_u64 v[8:9], v[8:9], 1, v[4:5]
	s_wait_loadcnt 0x0
	s_delay_alu instid0(VALU_DEP_2)
	v_add_f16_e32 v1, v13, v1
	global_load_u16 v8, v[8:9], off
	s_wait_loadcnt 0x0
	v_fma_f16 v12, -v13, v8, v12
	ds_store_b16 v11, v12
	ds_store_b16 v10, v1
.LBB5_4:                                ;   in Loop: Header=BB5_5 Depth=1
	s_or_b32 exec_lo, exec_lo, s17
	v_add_nc_u64_e32 v[6:7], 64, v[6:7]
	v_add_nc_u64_e32 v[4:5], s[10:11], v[4:5]
	;; [unrolled: 1-line block ×3, first 2 shown]
	s_delay_alu instid0(VALU_DEP_3) | instskip(SKIP_1) | instid1(SALU_CYCLE_1)
	v_cmp_le_i64_e32 vcc_lo, s[8:9], v[6:7]
	s_or_b32 s16, vcc_lo, s16
	s_and_not1_b32 exec_lo, exec_lo, s16
	s_cbranch_execz .LBB5_8
.LBB5_5:                                ; =>This Inner Loop Header: Depth=1
	global_load_b32 v8, v[2:3], off
	s_mov_b32 s17, exec_lo
	s_wait_loadcnt 0x0
	v_ashrrev_i32_e32 v9, 31, v8
	s_delay_alu instid0(VALU_DEP_1)
	v_cmpx_ne_u64_e64 s[12:13], v[8:9]
	s_cbranch_execz .LBB5_4
; %bb.6:                                ;   in Loop: Header=BB5_5 Depth=1
	s_and_not1_b32 vcc_lo, exec_lo, s15
	s_cbranch_vccz .LBB5_2
; %bb.7:                                ;   in Loop: Header=BB5_5 Depth=1
	v_mov_b32_e32 v13, 0x3c00
	s_branch .LBB5_3
.LBB5_8:
	s_or_b32 exec_lo, exec_lo, s14
; %bb.9:
	s_wait_dscnt 0x0
	s_barrier_signal -1
	s_barrier_wait -1
	s_mov_b32 s2, exec_lo
	v_cmpx_eq_u32_e32 0, v0
	s_cbranch_execz .LBB5_11
; %bb.10:
	v_mov_b32_e32 v10, 0
	s_load_b32 s0, s[0:1], 0x28
	ds_load_2addr_b32 v[4:5], v10 offset0:31 offset1:32
	ds_load_b128 v[0:3], v10
	ds_load_2addr_b32 v[8:9], v10 offset0:33 offset1:34
	ds_load_2addr_b32 v[6:7], v10 offset0:29 offset1:30
	s_wait_kmcnt 0x0
	s_bitcmp1_b32 s0, 0
	s_wait_dscnt 0x3
	v_and_b32_e32 v11, 0xffff, v5
	s_wait_dscnt 0x2
	v_dual_lshrrev_b32 v5, 16, v5 :: v_dual_lshrrev_b32 v18, 16, v0
	ds_load_b128 v[12:15], v10 offset:16
	ds_load_2addr_b32 v[16:17], v10 offset0:35 offset1:36
	v_lshl_or_b32 v0, v0, 16, v11
	v_and_b32_e32 v5, 0xffff, v5
	s_wait_dscnt 0x3
	v_and_b32_e32 v11, 0xffff, v8
	v_lshrrev_b32_e32 v8, 16, v8
	s_cselect_b32 vcc_lo, -1, 0
	v_pk_add_f16 v0, v0, 0
	v_lshl_or_b32 v5, v18, 16, v5
	v_lshrrev_b32_e32 v18, 16, v1
	v_lshl_or_b32 v1, v1, 16, v11
	v_and_b32_e32 v8, 0xffff, v8
	v_lshrrev_b32_e32 v11, 16, v2
	v_pk_add_f16 v0, v0, v5
	v_and_b32_e32 v5, 0xffff, v9
	v_lshrrev_b32_e32 v9, 16, v9
	v_lshl_or_b32 v8, v18, 16, v8
	s_delay_alu instid0(VALU_DEP_4) | instskip(NEXT) | instid1(VALU_DEP_4)
	v_pk_add_f16 v0, v0, v1
	v_lshl_or_b32 v2, v2, 16, v5
	s_delay_alu instid0(VALU_DEP_4)
	v_and_b32_e32 v5, 0xffff, v9
	s_wait_dscnt 0x0
	v_and_b32_e32 v9, 0xffff, v16
	v_lshrrev_b32_e32 v16, 16, v16
	v_pk_add_f16 v8, v0, v8
	ds_load_2addr_b32 v[0:1], v10 offset0:37 offset1:38
	v_lshl_or_b32 v5, v11, 16, v5
	v_lshrrev_b32_e32 v11, 16, v17
	v_pk_add_f16 v2, v8, v2
	v_lshrrev_b32_e32 v8, 16, v3
	v_lshl_or_b32 v3, v3, 16, v9
	v_and_b32_e32 v9, 0xffff, v16
	v_and_b32_e32 v11, 0xffff, v11
	v_pk_add_f16 v2, v2, v5
	v_and_b32_e32 v5, 0xffff, v17
	s_delay_alu instid0(VALU_DEP_4) | instskip(NEXT) | instid1(VALU_DEP_3)
	v_lshl_or_b32 v8, v8, 16, v9
	v_pk_add_f16 v2, v2, v3
	v_lshrrev_b32_e32 v3, 16, v12
	s_delay_alu instid0(VALU_DEP_4) | instskip(NEXT) | instid1(VALU_DEP_3)
	v_lshl_or_b32 v5, v12, 16, v5
	v_pk_add_f16 v2, v2, v8
	ds_load_2addr_b32 v[8:9], v10 offset0:39 offset1:40
	s_wait_dscnt 0x1
	v_and_b32_e32 v12, 0xffff, v0
	v_dual_lshrrev_b32 v0, 16, v0 :: v_dual_lshrrev_b32 v16, 16, v1
	v_pk_add_f16 v2, v2, v5
	v_lshrrev_b32_e32 v5, 16, v13
	v_lshl_or_b32 v3, v3, 16, v11
	v_lshl_or_b32 v11, v13, 16, v12
	v_and_b32_e32 v0, 0xffff, v0
	v_and_b32_e32 v13, 0xffff, v1
	ds_load_u16 v12, v10 offset:32
	v_pk_add_f16 v2, v2, v3
	v_lshrrev_b32_e32 v20, 16, v14
	v_lshl_or_b32 v5, v5, 16, v0
	v_lshl_or_b32 v13, v14, 16, v13
	v_and_b32_e32 v14, 0xffff, v16
	v_pk_add_f16 v11, v2, v11
	ds_load_b128 v[0:3], v10 offset:162
	ds_load_b128 v[16:19], v10 offset:34
	v_pk_add_f16 v5, v11, v5
	s_wait_dscnt 0x3
	v_and_b32_e32 v11, 0xffff, v8
	v_lshrrev_b32_e32 v8, 16, v8
	v_lshl_or_b32 v14, v20, 16, v14
	ds_load_b32 v20, v10 offset:50
	ds_load_u16 v21, v10 offset:54
	v_pk_add_f16 v5, v5, v13
	v_lshrrev_b32_e32 v13, 16, v15
	v_lshl_or_b32 v11, v15, 16, v11
	v_and_b32_e32 v8, 0xffff, v8
	s_delay_alu instid0(VALU_DEP_4) | instskip(SKIP_1) | instid1(VALU_DEP_2)
	v_pk_add_f16 v5, v5, v14
	v_and_b32_e32 v14, 0xffff, v9
	v_pk_add_f16 v5, v5, v11
	s_wait_dscnt 0x3
	v_and_b32_e32 v11, 0xffff, v0
	v_lshrrev_b32_e32 v0, 16, v0
	v_lshl_or_b32 v13, v13, 16, v8
	v_lshl_or_b32 v12, v12, 16, v14
	ds_load_b64 v[8:9], v10 offset:178
	s_wait_dscnt 0x3
	v_lshl_or_b32 v11, v16, 16, v11
	v_and_b32_e32 v0, 0xffff, v0
	v_pk_add_f16 v5, v5, v13
	v_lshrrev_b32_e32 v13, 16, v16
	s_delay_alu instid0(VALU_DEP_2) | instskip(SKIP_2) | instid1(VALU_DEP_4)
	v_pk_add_f16 v5, v5, v12
	v_and_b32_e32 v12, 0xffff, v1
	v_lshrrev_b32_e32 v1, 16, v1
	v_lshl_or_b32 v0, v13, 16, v0
	v_lshrrev_b32_e32 v13, 16, v3
	v_pk_add_f16 v5, v5, v11
	v_lshrrev_b32_e32 v11, 16, v17
	v_lshl_or_b32 v12, v17, 16, v12
	v_and_b32_e32 v1, 0xffff, v1
	s_delay_alu instid0(VALU_DEP_4) | instskip(SKIP_2) | instid1(VALU_DEP_4)
	v_pk_add_f16 v0, v5, v0
	v_and_b32_e32 v5, 0xffff, v2
	v_lshrrev_b32_e32 v2, 16, v2
	v_lshl_or_b32 v1, v11, 16, v1
	v_lshrrev_b32_e32 v11, 16, v18
	v_pk_add_f16 v0, v0, v12
	v_lshl_or_b32 v5, v18, 16, v5
	v_and_b32_e32 v2, 0xffff, v2
	v_and_b32_e32 v12, 0xffff, v3
	;; [unrolled: 1-line block ×3, first 2 shown]
	v_pk_add_f16 v0, v0, v1
	s_delay_alu instid0(VALU_DEP_4) | instskip(NEXT) | instid1(VALU_DEP_4)
	v_lshl_or_b32 v11, v11, 16, v2
	v_lshl_or_b32 v17, v19, 16, v12
	ds_load_2addr_b64 v[12:15], v10 offset0:7 offset1:8
	v_pk_add_f16 v5, v0, v5
	ds_load_2addr_b64 v[0:3], v10 offset0:23 offset1:24
	v_lshrrev_b32_e32 v16, 16, v19
	v_pk_add_f16 v5, v5, v11
	s_wait_dscnt 0x2
	v_and_b32_e32 v11, 0xffff, v8
	v_lshrrev_b32_e32 v8, 16, v8
	v_lshl_or_b32 v16, v16, 16, v18
	v_pk_add_f16 v5, v5, v17
	v_lshrrev_b32_e32 v17, 16, v20
	v_lshl_or_b32 v11, v20, 16, v11
	v_and_b32_e32 v8, 0xffff, v8
	s_delay_alu instid0(VALU_DEP_4) | instskip(SKIP_1) | instid1(VALU_DEP_3)
	v_pk_add_f16 v5, v5, v16
	v_and_b32_e32 v16, 0xffff, v9
	v_lshl_or_b32 v17, v17, 16, v8
	ds_load_b64 v[8:9], v10 offset:200
	v_pk_add_f16 v5, v5, v11
	s_wait_dscnt 0x1
	v_and_b32_e32 v11, 0xffff, v0
	v_lshl_or_b32 v16, v21, 16, v16
	s_delay_alu instid0(VALU_DEP_3)
	v_pk_add_f16 v5, v5, v17
	ds_load_b32 v17, v10 offset:72
	v_pk_add_f16 v5, v5, v16
	ds_load_u16 v16, v10 offset:76
	v_lshrrev_b32_e32 v0, 16, v0
	v_lshl_or_b32 v11, v12, 16, v11
	v_lshrrev_b32_e32 v18, 16, v12
	v_and_b32_e32 v12, 0xffff, v1
	v_lshrrev_b32_e32 v1, 16, v1
	s_delay_alu instid0(VALU_DEP_4)
	v_pk_add_f16 v5, v5, v11
	v_lshrrev_b32_e32 v11, 16, v13
	v_and_b32_e32 v0, 0xffff, v0
	v_lshl_or_b32 v12, v13, 16, v12
	v_and_b32_e32 v1, 0xffff, v1
	v_lshrrev_b32_e32 v13, 16, v3
	s_delay_alu instid0(VALU_DEP_4) | instskip(SKIP_1) | instid1(VALU_DEP_4)
	v_lshl_or_b32 v0, v18, 16, v0
	v_lshrrev_b32_e32 v18, 16, v15
	v_lshl_or_b32 v1, v11, 16, v1
	v_lshrrev_b32_e32 v11, 16, v14
	v_and_b32_e32 v20, 0xffff, v13
	v_pk_add_f16 v0, v5, v0
	v_and_b32_e32 v5, 0xffff, v2
	v_lshrrev_b32_e32 v2, 16, v2
	s_delay_alu instid0(VALU_DEP_3) | instskip(NEXT) | instid1(VALU_DEP_3)
	v_pk_add_f16 v0, v0, v12
	v_lshl_or_b32 v5, v14, 16, v5
	s_delay_alu instid0(VALU_DEP_3) | instskip(SKIP_1) | instid1(VALU_DEP_4)
	v_and_b32_e32 v2, 0xffff, v2
	v_and_b32_e32 v12, 0xffff, v3
	v_pk_add_f16 v0, v0, v1
	s_delay_alu instid0(VALU_DEP_3) | instskip(NEXT) | instid1(VALU_DEP_3)
	v_lshl_or_b32 v11, v11, 16, v2
	v_lshl_or_b32 v19, v15, 16, v12
	ds_load_b128 v[12:15], v10 offset:78
	v_pk_add_f16 v5, v0, v5
	ds_load_b128 v[0:3], v10 offset:206
	v_pk_add_f16 v5, v5, v11
	s_wait_dscnt 0x4
	v_and_b32_e32 v11, 0xffff, v8
	v_lshrrev_b32_e32 v8, 16, v8
	v_lshl_or_b32 v18, v18, 16, v20
	v_pk_add_f16 v5, v5, v19
	s_wait_dscnt 0x3
	v_lshrrev_b32_e32 v19, 16, v17
	v_lshl_or_b32 v11, v17, 16, v11
	v_and_b32_e32 v8, 0xffff, v8
	v_and_b32_e32 v17, 0xffff, v9
	v_pk_add_f16 v5, v5, v18
	s_delay_alu instid0(VALU_DEP_3)
	v_lshl_or_b32 v18, v19, 16, v8
	ds_load_b64 v[8:9], v10 offset:222
	v_pk_add_f16 v5, v5, v11
	s_wait_dscnt 0x1
	v_and_b32_e32 v11, 0xffff, v0
	v_lshrrev_b32_e32 v0, 16, v0
	v_lshl_or_b32 v19, v16, 16, v17
	v_lshrrev_b32_e32 v20, 16, v12
	v_pk_add_f16 v5, v5, v18
	v_lshl_or_b32 v11, v12, 16, v11
	v_and_b32_e32 v0, 0xffff, v0
	v_and_b32_e32 v12, 0xffff, v1
	v_lshrrev_b32_e32 v1, 16, v1
	v_pk_add_f16 v5, v5, v19
	ds_load_2addr_b32 v[16:17], v10 offset0:25 offset1:26
	ds_load_b32 v18, v10 offset:94
	v_lshl_or_b32 v0, v20, 16, v0
	v_lshl_or_b32 v12, v13, 16, v12
	v_and_b32_e32 v1, 0xffff, v1
	v_pk_add_f16 v5, v5, v11
	v_lshrrev_b32_e32 v11, 16, v13
	s_wait_dscnt 0x2
	v_and_b32_e32 v13, 0xffff, v8
	s_delay_alu instid0(VALU_DEP_3)
	v_pk_add_f16 v0, v5, v0
	v_and_b32_e32 v5, 0xffff, v2
	v_lshrrev_b32_e32 v2, 16, v2
	v_lshl_or_b32 v1, v11, 16, v1
	v_lshrrev_b32_e32 v11, 16, v14
	v_pk_add_f16 v0, v0, v12
	v_lshl_or_b32 v5, v14, 16, v5
	v_and_b32_e32 v2, 0xffff, v2
	v_and_b32_e32 v12, 0xffff, v3
	v_lshrrev_b32_e32 v3, 16, v3
	v_pk_add_f16 v0, v0, v1
	v_lshrrev_b32_e32 v8, 16, v8
	v_lshl_or_b32 v2, v11, 16, v2
	v_lshrrev_b32_e32 v11, 16, v15
	v_lshl_or_b32 v12, v15, 16, v12
	v_pk_add_f16 v5, v0, v5
	ds_load_2addr_b32 v[0:1], v10 offset0:57 offset1:58
	v_and_b32_e32 v3, 0xffff, v3
	v_and_b32_e32 v8, 0xffff, v8
	v_pk_add_f16 v2, v5, v2
	ds_load_u16 v5, v10 offset:98
	v_lshl_or_b32 v3, v11, 16, v3
	s_wait_dscnt 0x2
	v_lshrrev_b32_e32 v11, 16, v18
	v_pk_add_f16 v2, v2, v12
	v_lshl_or_b32 v12, v18, 16, v13
	v_and_b32_e32 v13, 0xffff, v9
	v_lshrrev_b32_e32 v18, 16, v16
	s_delay_alu instid0(VALU_DEP_4) | instskip(NEXT) | instid1(VALU_DEP_1)
	v_pk_add_f16 v2, v2, v3
	v_pk_add_f16 v12, v2, v12
	s_wait_dscnt 0x1
	v_and_b32_e32 v15, 0xffff, v0
	v_lshrrev_b32_e32 v0, 16, v0
	v_lshl_or_b32 v11, v11, 16, v8
	ds_load_2addr_b32 v[2:3], v10 offset0:59 offset1:60
	ds_load_2addr_b32 v[8:9], v10 offset0:61 offset1:62
	ds_load_b32 v14, v10 offset:252
	s_wait_dscnt 0x3
	v_lshl_or_b32 v5, v5, 16, v13
	v_lshl_or_b32 v15, v16, 16, v15
	v_pk_add_f16 v11, v12, v11
	ds_load_2addr_b32 v[12:13], v10 offset0:27 offset1:28
	v_and_b32_e32 v0, 0xffff, v0
	v_pk_add_f16 v5, v11, v5
	v_and_b32_e32 v11, 0xffff, v1
	v_lshrrev_b32_e32 v1, 16, v1
	s_delay_alu instid0(VALU_DEP_4) | instskip(NEXT) | instid1(VALU_DEP_4)
	v_lshl_or_b32 v0, v18, 16, v0
	v_pk_add_f16 v5, v5, v15
	v_lshrrev_b32_e32 v15, 16, v17
	v_lshl_or_b32 v11, v17, 16, v11
	v_and_b32_e32 v1, 0xffff, v1
	s_delay_alu instid0(VALU_DEP_4)
	v_pk_add_f16 v0, v5, v0
	s_wait_dscnt 0x3
	v_and_b32_e32 v5, 0xffff, v2
	v_lshrrev_b32_e32 v2, 16, v2
	v_lshl_or_b32 v1, v15, 16, v1
	v_pk_add_f16 v0, v0, v11
	s_wait_dscnt 0x0
	v_lshrrev_b32_e32 v11, 16, v12
	v_lshl_or_b32 v5, v12, 16, v5
	v_and_b32_e32 v2, 0xffff, v2
	v_pk_add_f16 v0, v0, v1
	v_and_b32_e32 v1, 0xffff, v3
	v_lshrrev_b32_e32 v3, 16, v3
	s_delay_alu instid0(VALU_DEP_4) | instskip(NEXT) | instid1(VALU_DEP_4)
	v_lshl_or_b32 v2, v11, 16, v2
	v_pk_add_f16 v0, v0, v5
	v_lshrrev_b32_e32 v5, 16, v13
	v_lshl_or_b32 v1, v13, 16, v1
	v_and_b32_e32 v3, 0xffff, v3
	s_delay_alu instid0(VALU_DEP_4) | instskip(SKIP_2) | instid1(VALU_DEP_4)
	v_pk_add_f16 v0, v0, v2
	v_and_b32_e32 v2, 0xffff, v8
	v_lshrrev_b32_e32 v8, 16, v8
	v_lshl_or_b32 v3, v5, 16, v3
	s_delay_alu instid0(VALU_DEP_4)
	v_pk_add_f16 v0, v0, v1
	v_lshrrev_b32_e32 v1, 16, v6
	v_lshl_or_b32 v2, v6, 16, v2
	v_and_b32_e32 v5, 0xffff, v8
	v_lshrrev_b32_e32 v6, 16, v9
	v_pk_add_f16 v0, v0, v3
	v_and_b32_e32 v3, 0xffff, v9
	s_delay_alu instid0(VALU_DEP_4) | instskip(NEXT) | instid1(VALU_DEP_4)
	v_lshl_or_b32 v1, v1, 16, v5
	v_and_b32_e32 v5, 0xffff, v6
	s_delay_alu instid0(VALU_DEP_4) | instskip(SKIP_2) | instid1(VALU_DEP_3)
	v_pk_add_f16 v0, v0, v2
	v_lshrrev_b32_e32 v2, 16, v7
	v_lshl_or_b32 v3, v7, 16, v3
	v_pk_add_f16 v0, v0, v1
	v_and_b32_e32 v1, 0xffff, v14
	s_delay_alu instid0(VALU_DEP_2) | instskip(SKIP_4) | instid1(VALU_DEP_3)
	v_pk_add_f16 v0, v0, v3
	v_lshrrev_b32_e32 v3, 16, v14
	v_lshl_or_b32 v2, v2, 16, v5
	v_lshrrev_b32_e32 v5, 16, v4
	v_lshl_or_b32 v1, v4, 16, v1
	v_pk_add_f16 v0, v0, v2
	v_and_b32_e32 v2, 0xffff, v3
	s_delay_alu instid0(VALU_DEP_2) | instskip(NEXT) | instid1(VALU_DEP_2)
	v_pk_add_f16 v0, v0, v1
	v_lshl_or_b32 v1, v5, 16, v2
	s_delay_alu instid0(VALU_DEP_1) | instskip(NEXT) | instid1(VALU_DEP_1)
	v_pk_add_f16 v0, v0, v1
	v_lshrrev_b32_e32 v1, 16, v0
	v_cvt_f32_f16_e32 v3, v0
	s_delay_alu instid0(VALU_DEP_2) | instskip(NEXT) | instid1(VALU_DEP_1)
	v_cvt_f32_f16_e32 v2, v1
	v_rcp_f32_e32 v2, v2
	v_nop
	s_delay_alu instid0(TRANS32_DEP_1) | instskip(NEXT) | instid1(VALU_DEP_1)
	v_mul_f32_e32 v3, v3, v2
	v_fma_mix_f32 v4, -v0, v3, v0 op_sel:[1,0,0] op_sel_hi:[1,0,1]
	s_delay_alu instid0(VALU_DEP_1) | instskip(NEXT) | instid1(VALU_DEP_1)
	v_fmac_f32_e32 v3, v4, v2
	v_fma_mix_f32 v4, -v0, v3, v0 op_sel:[1,0,0] op_sel_hi:[1,0,1]
	s_delay_alu instid0(VALU_DEP_1) | instskip(NEXT) | instid1(VALU_DEP_1)
	v_mul_f32_e32 v2, v4, v2
	v_and_b32_e32 v2, 0xff800000, v2
	s_delay_alu instid0(VALU_DEP_1) | instskip(NEXT) | instid1(VALU_DEP_1)
	v_add_f32_e32 v2, v2, v3
	v_cvt_f16_f32_e32 v2, v2
	s_delay_alu instid0(VALU_DEP_1) | instskip(NEXT) | instid1(VALU_DEP_1)
	v_div_fixup_f16 v2, v2, v1, v0
	v_cndmask_b32_e32 v0, v0, v2, vcc_lo
	s_clause 0x1
	global_store_b16 v10, v1, s[6:7]
	global_store_b16 v10, v0, s[4:5]
.LBB5_11:
	s_endpgm
	.section	.rodata,"a",@progbits
	.p2align	6, 0x0
	.amdhsa_kernel _Z32nll_loss_forward_reduce2d_kernelI6__halfS0_iLi64EEvPT_S2_PKS1_PKT1_S4_blll
		.amdhsa_group_segment_fixed_size 256
		.amdhsa_private_segment_fixed_size 0
		.amdhsa_kernarg_size 72
		.amdhsa_user_sgpr_count 2
		.amdhsa_user_sgpr_dispatch_ptr 0
		.amdhsa_user_sgpr_queue_ptr 0
		.amdhsa_user_sgpr_kernarg_segment_ptr 1
		.amdhsa_user_sgpr_dispatch_id 0
		.amdhsa_user_sgpr_kernarg_preload_length 0
		.amdhsa_user_sgpr_kernarg_preload_offset 0
		.amdhsa_user_sgpr_private_segment_size 0
		.amdhsa_wavefront_size32 1
		.amdhsa_uses_dynamic_stack 0
		.amdhsa_enable_private_segment 0
		.amdhsa_system_sgpr_workgroup_id_x 1
		.amdhsa_system_sgpr_workgroup_id_y 0
		.amdhsa_system_sgpr_workgroup_id_z 0
		.amdhsa_system_sgpr_workgroup_info 0
		.amdhsa_system_vgpr_workitem_id 0
		.amdhsa_next_free_vgpr 22
		.amdhsa_next_free_sgpr 20
		.amdhsa_named_barrier_count 0
		.amdhsa_reserve_vcc 1
		.amdhsa_float_round_mode_32 0
		.amdhsa_float_round_mode_16_64 0
		.amdhsa_float_denorm_mode_32 3
		.amdhsa_float_denorm_mode_16_64 3
		.amdhsa_fp16_overflow 0
		.amdhsa_memory_ordered 1
		.amdhsa_forward_progress 1
		.amdhsa_inst_pref_size 22
		.amdhsa_round_robin_scheduling 0
		.amdhsa_exception_fp_ieee_invalid_op 0
		.amdhsa_exception_fp_denorm_src 0
		.amdhsa_exception_fp_ieee_div_zero 0
		.amdhsa_exception_fp_ieee_overflow 0
		.amdhsa_exception_fp_ieee_underflow 0
		.amdhsa_exception_fp_ieee_inexact 0
		.amdhsa_exception_int_div_zero 0
	.end_amdhsa_kernel
	.section	.text._Z32nll_loss_forward_reduce2d_kernelI6__halfS0_iLi64EEvPT_S2_PKS1_PKT1_S4_blll,"axG",@progbits,_Z32nll_loss_forward_reduce2d_kernelI6__halfS0_iLi64EEvPT_S2_PKS1_PKT1_S4_blll,comdat
.Lfunc_end5:
	.size	_Z32nll_loss_forward_reduce2d_kernelI6__halfS0_iLi64EEvPT_S2_PKS1_PKT1_S4_blll, .Lfunc_end5-_Z32nll_loss_forward_reduce2d_kernelI6__halfS0_iLi64EEvPT_S2_PKS1_PKT1_S4_blll
                                        ; -- End function
	.set _Z32nll_loss_forward_reduce2d_kernelI6__halfS0_iLi64EEvPT_S2_PKS1_PKT1_S4_blll.num_vgpr, 22
	.set _Z32nll_loss_forward_reduce2d_kernelI6__halfS0_iLi64EEvPT_S2_PKS1_PKT1_S4_blll.num_agpr, 0
	.set _Z32nll_loss_forward_reduce2d_kernelI6__halfS0_iLi64EEvPT_S2_PKS1_PKT1_S4_blll.numbered_sgpr, 20
	.set _Z32nll_loss_forward_reduce2d_kernelI6__halfS0_iLi64EEvPT_S2_PKS1_PKT1_S4_blll.num_named_barrier, 0
	.set _Z32nll_loss_forward_reduce2d_kernelI6__halfS0_iLi64EEvPT_S2_PKS1_PKT1_S4_blll.private_seg_size, 0
	.set _Z32nll_loss_forward_reduce2d_kernelI6__halfS0_iLi64EEvPT_S2_PKS1_PKT1_S4_blll.uses_vcc, 1
	.set _Z32nll_loss_forward_reduce2d_kernelI6__halfS0_iLi64EEvPT_S2_PKS1_PKT1_S4_blll.uses_flat_scratch, 0
	.set _Z32nll_loss_forward_reduce2d_kernelI6__halfS0_iLi64EEvPT_S2_PKS1_PKT1_S4_blll.has_dyn_sized_stack, 0
	.set _Z32nll_loss_forward_reduce2d_kernelI6__halfS0_iLi64EEvPT_S2_PKS1_PKT1_S4_blll.has_recursion, 0
	.set _Z32nll_loss_forward_reduce2d_kernelI6__halfS0_iLi64EEvPT_S2_PKS1_PKT1_S4_blll.has_indirect_call, 0
	.section	.AMDGPU.csdata,"",@progbits
; Kernel info:
; codeLenInByte = 2732
; TotalNumSgprs: 22
; NumVgprs: 22
; ScratchSize: 0
; MemoryBound: 0
; FloatMode: 240
; IeeeMode: 1
; LDSByteSize: 256 bytes/workgroup (compile time only)
; SGPRBlocks: 0
; VGPRBlocks: 1
; NumSGPRsForWavesPerEU: 22
; NumVGPRsForWavesPerEU: 22
; NamedBarCnt: 0
; Occupancy: 16
; WaveLimiterHint : 1
; COMPUTE_PGM_RSRC2:SCRATCH_EN: 0
; COMPUTE_PGM_RSRC2:USER_SGPR: 2
; COMPUTE_PGM_RSRC2:TRAP_HANDLER: 0
; COMPUTE_PGM_RSRC2:TGID_X_EN: 1
; COMPUTE_PGM_RSRC2:TGID_Y_EN: 0
; COMPUTE_PGM_RSRC2:TGID_Z_EN: 0
; COMPUTE_PGM_RSRC2:TIDIG_COMP_CNT: 0
	.section	.text._Z32nll_loss_forward_reduce2d_kernelI6__halfS0_iLi128EEvPT_S2_PKS1_PKT1_S4_blll,"axG",@progbits,_Z32nll_loss_forward_reduce2d_kernelI6__halfS0_iLi128EEvPT_S2_PKS1_PKT1_S4_blll,comdat
	.protected	_Z32nll_loss_forward_reduce2d_kernelI6__halfS0_iLi128EEvPT_S2_PKS1_PKT1_S4_blll ; -- Begin function _Z32nll_loss_forward_reduce2d_kernelI6__halfS0_iLi128EEvPT_S2_PKS1_PKT1_S4_blll
	.globl	_Z32nll_loss_forward_reduce2d_kernelI6__halfS0_iLi128EEvPT_S2_PKS1_PKT1_S4_blll
	.p2align	8
	.type	_Z32nll_loss_forward_reduce2d_kernelI6__halfS0_iLi128EEvPT_S2_PKS1_PKT1_S4_blll,@function
_Z32nll_loss_forward_reduce2d_kernelI6__halfS0_iLi128EEvPT_S2_PKS1_PKT1_S4_blll: ; @_Z32nll_loss_forward_reduce2d_kernelI6__halfS0_iLi128EEvPT_S2_PKS1_PKT1_S4_blll
; %bb.0:
	s_clause 0x1
	s_load_b128 s[8:11], s[0:1], 0x30
	s_load_b128 s[4:7], s[0:1], 0x0
	v_dual_mov_b32 v1, 0 :: v_dual_lshlrev_b32 v10, 1, v0
	s_mov_b32 s14, exec_lo
	ds_store_b16 v10, v1 offset:256
	ds_store_b16 v10, v1
	s_wait_kmcnt 0x0
	v_cmpx_gt_i64_e64 s[8:9], v[0:1]
	s_cbranch_execz .LBB6_8
; %bb.1:
	v_mul_u64_e32 v[4:5], s[10:11], v[0:1]
	s_clause 0x2
	s_load_b64 s[2:3], s[0:1], 0x20
	s_load_b128 s[16:19], s[0:1], 0x10
	s_load_b64 s[12:13], s[0:1], 0x40
	v_dual_mov_b32 v3, v1 :: v_dual_lshlrev_b32 v2, 2, v0
	v_mov_b64_e32 v[6:7], v[0:1]
	v_dual_mov_b32 v12, v1 :: v_dual_add_nc_u32 v11, 0x100, v10
	s_wait_kmcnt 0x0
	s_cmp_lg_u64 s[2:3], 0
	v_add_nc_u64_e32 v[2:3], s[18:19], v[2:3]
	s_cselect_b32 s15, -1, 0
	s_lshl_b64 s[10:11], s[10:11], 8
	v_lshl_add_u64 v[4:5], v[4:5], 1, s[16:17]
	s_mov_b32 s16, 0
	s_branch .LBB6_5
.LBB6_2:                                ;   in Loop: Header=BB6_5 Depth=1
	v_lshl_add_u64 v[14:15], v[8:9], 1, s[2:3]
	global_load_u16 v13, v[14:15], off
.LBB6_3:                                ;   in Loop: Header=BB6_5 Depth=1
	v_lshl_add_u64 v[8:9], v[8:9], 1, v[4:5]
	s_wait_loadcnt 0x0
	s_delay_alu instid0(VALU_DEP_2)
	v_add_f16_e32 v1, v13, v1
	global_load_u16 v8, v[8:9], off
	s_wait_loadcnt 0x0
	v_fma_f16 v12, -v13, v8, v12
	ds_store_b16 v11, v12
	ds_store_b16 v10, v1
.LBB6_4:                                ;   in Loop: Header=BB6_5 Depth=1
	s_or_b32 exec_lo, exec_lo, s17
	v_add_nc_u64_e32 v[6:7], 0x80, v[6:7]
	v_add_nc_u64_e32 v[4:5], s[10:11], v[4:5]
	;; [unrolled: 1-line block ×3, first 2 shown]
	s_delay_alu instid0(VALU_DEP_3) | instskip(SKIP_1) | instid1(SALU_CYCLE_1)
	v_cmp_le_i64_e32 vcc_lo, s[8:9], v[6:7]
	s_or_b32 s16, vcc_lo, s16
	s_and_not1_b32 exec_lo, exec_lo, s16
	s_cbranch_execz .LBB6_8
.LBB6_5:                                ; =>This Inner Loop Header: Depth=1
	global_load_b32 v8, v[2:3], off
	s_mov_b32 s17, exec_lo
	s_wait_loadcnt 0x0
	v_ashrrev_i32_e32 v9, 31, v8
	s_delay_alu instid0(VALU_DEP_1)
	v_cmpx_ne_u64_e64 s[12:13], v[8:9]
	s_cbranch_execz .LBB6_4
; %bb.6:                                ;   in Loop: Header=BB6_5 Depth=1
	s_and_not1_b32 vcc_lo, exec_lo, s15
	s_cbranch_vccz .LBB6_2
; %bb.7:                                ;   in Loop: Header=BB6_5 Depth=1
	v_mov_b32_e32 v13, 0x3c00
	s_branch .LBB6_3
.LBB6_8:
	s_or_b32 exec_lo, exec_lo, s14
; %bb.9:
	s_mov_b32 s3, 0
	s_wait_dscnt 0x0
	s_barrier_signal -1
	s_barrier_wait -1
	s_mov_b32 s2, exec_lo
	v_cmpx_eq_u32_e32 0, v0
	s_cbranch_execz .LBB6_13
; %bb.10:
	s_mov_b32 s2, 0
	s_mov_b32 s8, 0
.LBB6_11:                               ; =>This Inner Loop Header: Depth=1
	v_mov_b32_e32 v12, s2
	s_add_co_i32 s2, s2, 32
	ds_load_b128 v[0:3], v12 offset:256
	ds_load_b128 v[4:7], v12
	ds_load_b128 v[8:11], v12 offset:16
	ds_load_b128 v[12:15], v12 offset:272
	s_wait_dscnt 0x3
	v_readfirstlane_b32 s9, v0
	s_wait_dscnt 0x2
	v_readfirstlane_b32 s10, v4
	v_readfirstlane_b32 s11, v1
	v_readfirstlane_b32 s12, v5
	s_add_f16 s8, s8, s9
	s_add_f16 s3, s3, s10
	s_lshr_b32 s9, s9, 16
	s_lshr_b32 s10, s10, 16
	s_add_f16 s8, s8, s9
	s_add_f16 s3, s3, s10
	v_readfirstlane_b32 s9, v2
	v_readfirstlane_b32 s10, v6
	s_add_f16 s8, s8, s11
	s_add_f16 s3, s3, s12
	s_lshr_b32 s11, s11, 16
	s_lshr_b32 s12, s12, 16
	s_add_f16 s8, s8, s11
	s_add_f16 s3, s3, s12
	v_readfirstlane_b32 s11, v3
	v_readfirstlane_b32 s12, v7
	s_add_f16 s8, s8, s9
	s_add_f16 s3, s3, s10
	s_lshr_b32 s9, s9, 16
	s_lshr_b32 s10, s10, 16
	s_add_f16 s8, s8, s9
	s_add_f16 s3, s3, s10
	s_wait_dscnt 0x0
	v_readfirstlane_b32 s9, v12
	v_readfirstlane_b32 s10, v8
	s_add_f16 s8, s8, s11
	s_add_f16 s3, s3, s12
	s_lshr_b32 s11, s11, 16
	s_lshr_b32 s12, s12, 16
	s_add_f16 s8, s8, s11
	s_add_f16 s3, s3, s12
	v_readfirstlane_b32 s11, v13
	v_readfirstlane_b32 s12, v9
	s_add_f16 s8, s8, s9
	s_add_f16 s3, s3, s10
	s_lshr_b32 s9, s9, 16
	s_lshr_b32 s10, s10, 16
	s_add_f16 s8, s8, s9
	s_add_f16 s3, s3, s10
	;; [unrolled: 8-line block ×4, first 2 shown]
	s_lshr_b32 s9, s11, 16
	s_lshr_b32 s10, s12, 16
	s_add_f16 s8, s8, s11
	s_add_f16 s3, s3, s12
	s_cmp_eq_u32 s2, 0x100
	s_delay_alu instid0(SALU_CYCLE_1) | instskip(NEXT) | instid1(SALU_CYCLE_1)
	s_add_f16 s8, s8, s9
	s_add_f16 s3, s3, s10
	s_cbranch_scc0 .LBB6_11
; %bb.12:
	s_delay_alu instid0(SALU_CYCLE_2)
	s_cvt_f32_f16 s2, s3
	s_cvt_f32_f16 s9, s8
	s_load_b32 s0, s[0:1], 0x28
	v_mov_b32_e32 v2, s3
	v_s_rcp_f32 s2, s2
	v_mov_b32_e32 v0, s8
	s_delay_alu instid0(TRANS32_DEP_1)
	s_mul_f32 s9, s9, s2
	s_delay_alu instid0(VALU_DEP_1) | instid1(SALU_CYCLE_3)
	v_fma_mix_f32 v0, -s3, s9, v0 op_sel_hi:[1,0,1]
	s_delay_alu instid0(VALU_DEP_1) | instskip(SKIP_3) | instid1(VALU_DEP_1)
	v_fma_f32 v0, v0, s2, s9
	s_wait_kmcnt 0x0
	s_bitcmp1_b32 s0, 0
	s_cselect_b32 vcc_lo, -1, 0
	v_fma_mix_f32 v1, -s3, v0, s8 op_sel_hi:[1,0,1]
	s_delay_alu instid0(VALU_DEP_1) | instskip(NEXT) | instid1(VALU_DEP_1)
	v_mul_f32_e32 v1, s2, v1
	v_and_b32_e32 v1, 0xff800000, v1
	s_delay_alu instid0(VALU_DEP_1) | instskip(NEXT) | instid1(VALU_DEP_1)
	v_dual_add_f32 v0, v1, v0 :: v_dual_mov_b32 v1, 0
	v_cvt_f16_f32_e32 v0, v0
	s_delay_alu instid0(VALU_DEP_1) | instskip(NEXT) | instid1(VALU_DEP_1)
	v_div_fixup_f16 v0, v0, s3, s8
	v_cndmask_b32_e32 v0, s8, v0, vcc_lo
	s_clause 0x1
	global_store_b16 v1, v2, s[6:7]
	global_store_b16 v1, v0, s[4:5]
.LBB6_13:
	s_endpgm
	.section	.rodata,"a",@progbits
	.p2align	6, 0x0
	.amdhsa_kernel _Z32nll_loss_forward_reduce2d_kernelI6__halfS0_iLi128EEvPT_S2_PKS1_PKT1_S4_blll
		.amdhsa_group_segment_fixed_size 512
		.amdhsa_private_segment_fixed_size 0
		.amdhsa_kernarg_size 72
		.amdhsa_user_sgpr_count 2
		.amdhsa_user_sgpr_dispatch_ptr 0
		.amdhsa_user_sgpr_queue_ptr 0
		.amdhsa_user_sgpr_kernarg_segment_ptr 1
		.amdhsa_user_sgpr_dispatch_id 0
		.amdhsa_user_sgpr_kernarg_preload_length 0
		.amdhsa_user_sgpr_kernarg_preload_offset 0
		.amdhsa_user_sgpr_private_segment_size 0
		.amdhsa_wavefront_size32 1
		.amdhsa_uses_dynamic_stack 0
		.amdhsa_enable_private_segment 0
		.amdhsa_system_sgpr_workgroup_id_x 1
		.amdhsa_system_sgpr_workgroup_id_y 0
		.amdhsa_system_sgpr_workgroup_id_z 0
		.amdhsa_system_sgpr_workgroup_info 0
		.amdhsa_system_vgpr_workitem_id 0
		.amdhsa_next_free_vgpr 16
		.amdhsa_next_free_sgpr 20
		.amdhsa_named_barrier_count 0
		.amdhsa_reserve_vcc 1
		.amdhsa_float_round_mode_32 0
		.amdhsa_float_round_mode_16_64 0
		.amdhsa_float_denorm_mode_32 3
		.amdhsa_float_denorm_mode_16_64 3
		.amdhsa_fp16_overflow 0
		.amdhsa_memory_ordered 1
		.amdhsa_forward_progress 1
		.amdhsa_inst_pref_size 7
		.amdhsa_round_robin_scheduling 0
		.amdhsa_exception_fp_ieee_invalid_op 0
		.amdhsa_exception_fp_denorm_src 0
		.amdhsa_exception_fp_ieee_div_zero 0
		.amdhsa_exception_fp_ieee_overflow 0
		.amdhsa_exception_fp_ieee_underflow 0
		.amdhsa_exception_fp_ieee_inexact 0
		.amdhsa_exception_int_div_zero 0
	.end_amdhsa_kernel
	.section	.text._Z32nll_loss_forward_reduce2d_kernelI6__halfS0_iLi128EEvPT_S2_PKS1_PKT1_S4_blll,"axG",@progbits,_Z32nll_loss_forward_reduce2d_kernelI6__halfS0_iLi128EEvPT_S2_PKS1_PKT1_S4_blll,comdat
.Lfunc_end6:
	.size	_Z32nll_loss_forward_reduce2d_kernelI6__halfS0_iLi128EEvPT_S2_PKS1_PKT1_S4_blll, .Lfunc_end6-_Z32nll_loss_forward_reduce2d_kernelI6__halfS0_iLi128EEvPT_S2_PKS1_PKT1_S4_blll
                                        ; -- End function
	.set _Z32nll_loss_forward_reduce2d_kernelI6__halfS0_iLi128EEvPT_S2_PKS1_PKT1_S4_blll.num_vgpr, 16
	.set _Z32nll_loss_forward_reduce2d_kernelI6__halfS0_iLi128EEvPT_S2_PKS1_PKT1_S4_blll.num_agpr, 0
	.set _Z32nll_loss_forward_reduce2d_kernelI6__halfS0_iLi128EEvPT_S2_PKS1_PKT1_S4_blll.numbered_sgpr, 20
	.set _Z32nll_loss_forward_reduce2d_kernelI6__halfS0_iLi128EEvPT_S2_PKS1_PKT1_S4_blll.num_named_barrier, 0
	.set _Z32nll_loss_forward_reduce2d_kernelI6__halfS0_iLi128EEvPT_S2_PKS1_PKT1_S4_blll.private_seg_size, 0
	.set _Z32nll_loss_forward_reduce2d_kernelI6__halfS0_iLi128EEvPT_S2_PKS1_PKT1_S4_blll.uses_vcc, 1
	.set _Z32nll_loss_forward_reduce2d_kernelI6__halfS0_iLi128EEvPT_S2_PKS1_PKT1_S4_blll.uses_flat_scratch, 0
	.set _Z32nll_loss_forward_reduce2d_kernelI6__halfS0_iLi128EEvPT_S2_PKS1_PKT1_S4_blll.has_dyn_sized_stack, 0
	.set _Z32nll_loss_forward_reduce2d_kernelI6__halfS0_iLi128EEvPT_S2_PKS1_PKT1_S4_blll.has_recursion, 0
	.set _Z32nll_loss_forward_reduce2d_kernelI6__halfS0_iLi128EEvPT_S2_PKS1_PKT1_S4_blll.has_indirect_call, 0
	.section	.AMDGPU.csdata,"",@progbits
; Kernel info:
; codeLenInByte = 872
; TotalNumSgprs: 22
; NumVgprs: 16
; ScratchSize: 0
; MemoryBound: 0
; FloatMode: 240
; IeeeMode: 1
; LDSByteSize: 512 bytes/workgroup (compile time only)
; SGPRBlocks: 0
; VGPRBlocks: 0
; NumSGPRsForWavesPerEU: 22
; NumVGPRsForWavesPerEU: 16
; NamedBarCnt: 0
; Occupancy: 16
; WaveLimiterHint : 1
; COMPUTE_PGM_RSRC2:SCRATCH_EN: 0
; COMPUTE_PGM_RSRC2:USER_SGPR: 2
; COMPUTE_PGM_RSRC2:TRAP_HANDLER: 0
; COMPUTE_PGM_RSRC2:TGID_X_EN: 1
; COMPUTE_PGM_RSRC2:TGID_Y_EN: 0
; COMPUTE_PGM_RSRC2:TGID_Z_EN: 0
; COMPUTE_PGM_RSRC2:TIDIG_COMP_CNT: 0
	.section	.text._Z32nll_loss_forward_reduce2d_kernelI6__halfS0_iLi256EEvPT_S2_PKS1_PKT1_S4_blll,"axG",@progbits,_Z32nll_loss_forward_reduce2d_kernelI6__halfS0_iLi256EEvPT_S2_PKS1_PKT1_S4_blll,comdat
	.protected	_Z32nll_loss_forward_reduce2d_kernelI6__halfS0_iLi256EEvPT_S2_PKS1_PKT1_S4_blll ; -- Begin function _Z32nll_loss_forward_reduce2d_kernelI6__halfS0_iLi256EEvPT_S2_PKS1_PKT1_S4_blll
	.globl	_Z32nll_loss_forward_reduce2d_kernelI6__halfS0_iLi256EEvPT_S2_PKS1_PKT1_S4_blll
	.p2align	8
	.type	_Z32nll_loss_forward_reduce2d_kernelI6__halfS0_iLi256EEvPT_S2_PKS1_PKT1_S4_blll,@function
_Z32nll_loss_forward_reduce2d_kernelI6__halfS0_iLi256EEvPT_S2_PKS1_PKT1_S4_blll: ; @_Z32nll_loss_forward_reduce2d_kernelI6__halfS0_iLi256EEvPT_S2_PKS1_PKT1_S4_blll
; %bb.0:
	s_clause 0x1
	s_load_b128 s[8:11], s[0:1], 0x30
	s_load_b128 s[4:7], s[0:1], 0x0
	v_dual_mov_b32 v1, 0 :: v_dual_lshlrev_b32 v10, 1, v0
	s_mov_b32 s14, exec_lo
	ds_store_b16 v10, v1 offset:512
	ds_store_b16 v10, v1
	s_wait_kmcnt 0x0
	v_cmpx_gt_i64_e64 s[8:9], v[0:1]
	s_cbranch_execz .LBB7_8
; %bb.1:
	v_mul_u64_e32 v[4:5], s[10:11], v[0:1]
	s_clause 0x2
	s_load_b64 s[2:3], s[0:1], 0x20
	s_load_b128 s[16:19], s[0:1], 0x10
	s_load_b64 s[12:13], s[0:1], 0x40
	v_dual_mov_b32 v3, v1 :: v_dual_lshlrev_b32 v2, 2, v0
	v_mov_b64_e32 v[6:7], v[0:1]
	v_dual_mov_b32 v12, v1 :: v_dual_add_nc_u32 v11, 0x200, v10
	s_wait_kmcnt 0x0
	s_cmp_lg_u64 s[2:3], 0
	v_add_nc_u64_e32 v[2:3], s[18:19], v[2:3]
	s_cselect_b32 s15, -1, 0
	s_lshl_b64 s[10:11], s[10:11], 9
	v_lshl_add_u64 v[4:5], v[4:5], 1, s[16:17]
	s_mov_b32 s16, 0
	s_branch .LBB7_5
.LBB7_2:                                ;   in Loop: Header=BB7_5 Depth=1
	v_lshl_add_u64 v[14:15], v[8:9], 1, s[2:3]
	global_load_u16 v13, v[14:15], off
.LBB7_3:                                ;   in Loop: Header=BB7_5 Depth=1
	v_lshl_add_u64 v[8:9], v[8:9], 1, v[4:5]
	s_wait_loadcnt 0x0
	s_delay_alu instid0(VALU_DEP_2)
	v_add_f16_e32 v1, v13, v1
	global_load_u16 v8, v[8:9], off
	s_wait_loadcnt 0x0
	v_fma_f16 v12, -v13, v8, v12
	ds_store_b16 v11, v12
	ds_store_b16 v10, v1
.LBB7_4:                                ;   in Loop: Header=BB7_5 Depth=1
	s_or_b32 exec_lo, exec_lo, s17
	v_add_nc_u64_e32 v[6:7], 0x100, v[6:7]
	v_add_nc_u64_e32 v[4:5], s[10:11], v[4:5]
	;; [unrolled: 1-line block ×3, first 2 shown]
	s_delay_alu instid0(VALU_DEP_3) | instskip(SKIP_1) | instid1(SALU_CYCLE_1)
	v_cmp_le_i64_e32 vcc_lo, s[8:9], v[6:7]
	s_or_b32 s16, vcc_lo, s16
	s_and_not1_b32 exec_lo, exec_lo, s16
	s_cbranch_execz .LBB7_8
.LBB7_5:                                ; =>This Inner Loop Header: Depth=1
	global_load_b32 v8, v[2:3], off
	s_mov_b32 s17, exec_lo
	s_wait_loadcnt 0x0
	v_ashrrev_i32_e32 v9, 31, v8
	s_delay_alu instid0(VALU_DEP_1)
	v_cmpx_ne_u64_e64 s[12:13], v[8:9]
	s_cbranch_execz .LBB7_4
; %bb.6:                                ;   in Loop: Header=BB7_5 Depth=1
	s_and_not1_b32 vcc_lo, exec_lo, s15
	s_cbranch_vccz .LBB7_2
; %bb.7:                                ;   in Loop: Header=BB7_5 Depth=1
	v_mov_b32_e32 v13, 0x3c00
	s_branch .LBB7_3
.LBB7_8:
	s_or_b32 exec_lo, exec_lo, s14
; %bb.9:
	s_mov_b32 s3, 0
	s_wait_dscnt 0x0
	s_barrier_signal -1
	s_barrier_wait -1
	s_mov_b32 s2, exec_lo
	v_cmpx_eq_u32_e32 0, v0
	s_cbranch_execz .LBB7_13
; %bb.10:
	s_mov_b32 s2, 0
	s_mov_b32 s8, 0
.LBB7_11:                               ; =>This Inner Loop Header: Depth=1
	v_mov_b32_e32 v12, s2
	s_add_co_i32 s2, s2, 32
	ds_load_b128 v[0:3], v12 offset:512
	ds_load_b128 v[4:7], v12
	ds_load_b128 v[8:11], v12 offset:16
	ds_load_b128 v[12:15], v12 offset:528
	s_wait_dscnt 0x3
	v_readfirstlane_b32 s9, v0
	s_wait_dscnt 0x2
	v_readfirstlane_b32 s10, v4
	v_readfirstlane_b32 s11, v1
	;; [unrolled: 1-line block ×3, first 2 shown]
	s_add_f16 s8, s8, s9
	s_add_f16 s3, s3, s10
	s_lshr_b32 s9, s9, 16
	s_lshr_b32 s10, s10, 16
	s_add_f16 s8, s8, s9
	s_add_f16 s3, s3, s10
	v_readfirstlane_b32 s9, v2
	v_readfirstlane_b32 s10, v6
	s_add_f16 s8, s8, s11
	s_add_f16 s3, s3, s12
	s_lshr_b32 s11, s11, 16
	s_lshr_b32 s12, s12, 16
	s_add_f16 s8, s8, s11
	s_add_f16 s3, s3, s12
	v_readfirstlane_b32 s11, v3
	v_readfirstlane_b32 s12, v7
	s_add_f16 s8, s8, s9
	s_add_f16 s3, s3, s10
	s_lshr_b32 s9, s9, 16
	s_lshr_b32 s10, s10, 16
	s_add_f16 s8, s8, s9
	s_add_f16 s3, s3, s10
	s_wait_dscnt 0x0
	v_readfirstlane_b32 s9, v12
	v_readfirstlane_b32 s10, v8
	s_add_f16 s8, s8, s11
	s_add_f16 s3, s3, s12
	s_lshr_b32 s11, s11, 16
	s_lshr_b32 s12, s12, 16
	s_add_f16 s8, s8, s11
	s_add_f16 s3, s3, s12
	v_readfirstlane_b32 s11, v13
	v_readfirstlane_b32 s12, v9
	s_add_f16 s8, s8, s9
	s_add_f16 s3, s3, s10
	s_lshr_b32 s9, s9, 16
	s_lshr_b32 s10, s10, 16
	s_add_f16 s8, s8, s9
	s_add_f16 s3, s3, s10
	v_readfirstlane_b32 s9, v14
	v_readfirstlane_b32 s10, v10
	s_add_f16 s8, s8, s11
	s_add_f16 s3, s3, s12
	s_lshr_b32 s11, s11, 16
	s_lshr_b32 s12, s12, 16
	s_add_f16 s8, s8, s11
	s_add_f16 s3, s3, s12
	v_readfirstlane_b32 s11, v15
	v_readfirstlane_b32 s12, v11
	s_add_f16 s8, s8, s9
	s_add_f16 s3, s3, s10
	s_lshr_b32 s9, s9, 16
	s_lshr_b32 s10, s10, 16
	s_add_f16 s8, s8, s9
	s_add_f16 s3, s3, s10
	s_lshr_b32 s9, s11, 16
	s_lshr_b32 s10, s12, 16
	s_add_f16 s8, s8, s11
	s_add_f16 s3, s3, s12
	s_cmp_eq_u32 s2, 0x200
	s_delay_alu instid0(SALU_CYCLE_1) | instskip(NEXT) | instid1(SALU_CYCLE_1)
	s_add_f16 s8, s8, s9
	s_add_f16 s3, s3, s10
	s_cbranch_scc0 .LBB7_11
; %bb.12:
	s_delay_alu instid0(SALU_CYCLE_2)
	s_cvt_f32_f16 s2, s3
	s_cvt_f32_f16 s9, s8
	s_load_b32 s0, s[0:1], 0x28
	v_mov_b32_e32 v2, s3
	v_s_rcp_f32 s2, s2
	v_mov_b32_e32 v0, s8
	s_delay_alu instid0(TRANS32_DEP_1)
	s_mul_f32 s9, s9, s2
	s_delay_alu instid0(VALU_DEP_1) | instid1(SALU_CYCLE_3)
	v_fma_mix_f32 v0, -s3, s9, v0 op_sel_hi:[1,0,1]
	s_delay_alu instid0(VALU_DEP_1) | instskip(SKIP_3) | instid1(VALU_DEP_1)
	v_fma_f32 v0, v0, s2, s9
	s_wait_kmcnt 0x0
	s_bitcmp1_b32 s0, 0
	s_cselect_b32 vcc_lo, -1, 0
	v_fma_mix_f32 v1, -s3, v0, s8 op_sel_hi:[1,0,1]
	s_delay_alu instid0(VALU_DEP_1) | instskip(NEXT) | instid1(VALU_DEP_1)
	v_mul_f32_e32 v1, s2, v1
	v_and_b32_e32 v1, 0xff800000, v1
	s_delay_alu instid0(VALU_DEP_1) | instskip(NEXT) | instid1(VALU_DEP_1)
	v_dual_add_f32 v0, v1, v0 :: v_dual_mov_b32 v1, 0
	v_cvt_f16_f32_e32 v0, v0
	s_delay_alu instid0(VALU_DEP_1) | instskip(NEXT) | instid1(VALU_DEP_1)
	v_div_fixup_f16 v0, v0, s3, s8
	v_cndmask_b32_e32 v0, s8, v0, vcc_lo
	s_clause 0x1
	global_store_b16 v1, v2, s[6:7]
	global_store_b16 v1, v0, s[4:5]
.LBB7_13:
	s_endpgm
	.section	.rodata,"a",@progbits
	.p2align	6, 0x0
	.amdhsa_kernel _Z32nll_loss_forward_reduce2d_kernelI6__halfS0_iLi256EEvPT_S2_PKS1_PKT1_S4_blll
		.amdhsa_group_segment_fixed_size 1024
		.amdhsa_private_segment_fixed_size 0
		.amdhsa_kernarg_size 72
		.amdhsa_user_sgpr_count 2
		.amdhsa_user_sgpr_dispatch_ptr 0
		.amdhsa_user_sgpr_queue_ptr 0
		.amdhsa_user_sgpr_kernarg_segment_ptr 1
		.amdhsa_user_sgpr_dispatch_id 0
		.amdhsa_user_sgpr_kernarg_preload_length 0
		.amdhsa_user_sgpr_kernarg_preload_offset 0
		.amdhsa_user_sgpr_private_segment_size 0
		.amdhsa_wavefront_size32 1
		.amdhsa_uses_dynamic_stack 0
		.amdhsa_enable_private_segment 0
		.amdhsa_system_sgpr_workgroup_id_x 1
		.amdhsa_system_sgpr_workgroup_id_y 0
		.amdhsa_system_sgpr_workgroup_id_z 0
		.amdhsa_system_sgpr_workgroup_info 0
		.amdhsa_system_vgpr_workitem_id 0
		.amdhsa_next_free_vgpr 16
		.amdhsa_next_free_sgpr 20
		.amdhsa_named_barrier_count 0
		.amdhsa_reserve_vcc 1
		.amdhsa_float_round_mode_32 0
		.amdhsa_float_round_mode_16_64 0
		.amdhsa_float_denorm_mode_32 3
		.amdhsa_float_denorm_mode_16_64 3
		.amdhsa_fp16_overflow 0
		.amdhsa_memory_ordered 1
		.amdhsa_forward_progress 1
		.amdhsa_inst_pref_size 7
		.amdhsa_round_robin_scheduling 0
		.amdhsa_exception_fp_ieee_invalid_op 0
		.amdhsa_exception_fp_denorm_src 0
		.amdhsa_exception_fp_ieee_div_zero 0
		.amdhsa_exception_fp_ieee_overflow 0
		.amdhsa_exception_fp_ieee_underflow 0
		.amdhsa_exception_fp_ieee_inexact 0
		.amdhsa_exception_int_div_zero 0
	.end_amdhsa_kernel
	.section	.text._Z32nll_loss_forward_reduce2d_kernelI6__halfS0_iLi256EEvPT_S2_PKS1_PKT1_S4_blll,"axG",@progbits,_Z32nll_loss_forward_reduce2d_kernelI6__halfS0_iLi256EEvPT_S2_PKS1_PKT1_S4_blll,comdat
.Lfunc_end7:
	.size	_Z32nll_loss_forward_reduce2d_kernelI6__halfS0_iLi256EEvPT_S2_PKS1_PKT1_S4_blll, .Lfunc_end7-_Z32nll_loss_forward_reduce2d_kernelI6__halfS0_iLi256EEvPT_S2_PKS1_PKT1_S4_blll
                                        ; -- End function
	.set _Z32nll_loss_forward_reduce2d_kernelI6__halfS0_iLi256EEvPT_S2_PKS1_PKT1_S4_blll.num_vgpr, 16
	.set _Z32nll_loss_forward_reduce2d_kernelI6__halfS0_iLi256EEvPT_S2_PKS1_PKT1_S4_blll.num_agpr, 0
	.set _Z32nll_loss_forward_reduce2d_kernelI6__halfS0_iLi256EEvPT_S2_PKS1_PKT1_S4_blll.numbered_sgpr, 20
	.set _Z32nll_loss_forward_reduce2d_kernelI6__halfS0_iLi256EEvPT_S2_PKS1_PKT1_S4_blll.num_named_barrier, 0
	.set _Z32nll_loss_forward_reduce2d_kernelI6__halfS0_iLi256EEvPT_S2_PKS1_PKT1_S4_blll.private_seg_size, 0
	.set _Z32nll_loss_forward_reduce2d_kernelI6__halfS0_iLi256EEvPT_S2_PKS1_PKT1_S4_blll.uses_vcc, 1
	.set _Z32nll_loss_forward_reduce2d_kernelI6__halfS0_iLi256EEvPT_S2_PKS1_PKT1_S4_blll.uses_flat_scratch, 0
	.set _Z32nll_loss_forward_reduce2d_kernelI6__halfS0_iLi256EEvPT_S2_PKS1_PKT1_S4_blll.has_dyn_sized_stack, 0
	.set _Z32nll_loss_forward_reduce2d_kernelI6__halfS0_iLi256EEvPT_S2_PKS1_PKT1_S4_blll.has_recursion, 0
	.set _Z32nll_loss_forward_reduce2d_kernelI6__halfS0_iLi256EEvPT_S2_PKS1_PKT1_S4_blll.has_indirect_call, 0
	.section	.AMDGPU.csdata,"",@progbits
; Kernel info:
; codeLenInByte = 872
; TotalNumSgprs: 22
; NumVgprs: 16
; ScratchSize: 0
; MemoryBound: 0
; FloatMode: 240
; IeeeMode: 1
; LDSByteSize: 1024 bytes/workgroup (compile time only)
; SGPRBlocks: 0
; VGPRBlocks: 0
; NumSGPRsForWavesPerEU: 22
; NumVGPRsForWavesPerEU: 16
; NamedBarCnt: 0
; Occupancy: 16
; WaveLimiterHint : 1
; COMPUTE_PGM_RSRC2:SCRATCH_EN: 0
; COMPUTE_PGM_RSRC2:USER_SGPR: 2
; COMPUTE_PGM_RSRC2:TRAP_HANDLER: 0
; COMPUTE_PGM_RSRC2:TGID_X_EN: 1
; COMPUTE_PGM_RSRC2:TGID_Y_EN: 0
; COMPUTE_PGM_RSRC2:TGID_Z_EN: 0
; COMPUTE_PGM_RSRC2:TIDIG_COMP_CNT: 0
	.section	.text._Z32nll_loss_forward_reduce2d_kernelI6__halfS0_iLi512EEvPT_S2_PKS1_PKT1_S4_blll,"axG",@progbits,_Z32nll_loss_forward_reduce2d_kernelI6__halfS0_iLi512EEvPT_S2_PKS1_PKT1_S4_blll,comdat
	.protected	_Z32nll_loss_forward_reduce2d_kernelI6__halfS0_iLi512EEvPT_S2_PKS1_PKT1_S4_blll ; -- Begin function _Z32nll_loss_forward_reduce2d_kernelI6__halfS0_iLi512EEvPT_S2_PKS1_PKT1_S4_blll
	.globl	_Z32nll_loss_forward_reduce2d_kernelI6__halfS0_iLi512EEvPT_S2_PKS1_PKT1_S4_blll
	.p2align	8
	.type	_Z32nll_loss_forward_reduce2d_kernelI6__halfS0_iLi512EEvPT_S2_PKS1_PKT1_S4_blll,@function
_Z32nll_loss_forward_reduce2d_kernelI6__halfS0_iLi512EEvPT_S2_PKS1_PKT1_S4_blll: ; @_Z32nll_loss_forward_reduce2d_kernelI6__halfS0_iLi512EEvPT_S2_PKS1_PKT1_S4_blll
; %bb.0:
	s_clause 0x1
	s_load_b128 s[8:11], s[0:1], 0x30
	s_load_b128 s[4:7], s[0:1], 0x0
	v_dual_mov_b32 v1, 0 :: v_dual_lshlrev_b32 v10, 1, v0
	s_mov_b32 s14, exec_lo
	ds_store_b16 v10, v1 offset:1024
	ds_store_b16 v10, v1
	s_wait_kmcnt 0x0
	v_cmpx_gt_i64_e64 s[8:9], v[0:1]
	s_cbranch_execz .LBB8_8
; %bb.1:
	v_mul_u64_e32 v[4:5], s[10:11], v[0:1]
	s_clause 0x2
	s_load_b64 s[2:3], s[0:1], 0x20
	s_load_b128 s[16:19], s[0:1], 0x10
	s_load_b64 s[12:13], s[0:1], 0x40
	v_dual_mov_b32 v3, v1 :: v_dual_lshlrev_b32 v2, 2, v0
	v_mov_b64_e32 v[6:7], v[0:1]
	v_dual_mov_b32 v12, v1 :: v_dual_add_nc_u32 v11, 0x400, v10
	s_wait_kmcnt 0x0
	s_cmp_lg_u64 s[2:3], 0
	v_add_nc_u64_e32 v[2:3], s[18:19], v[2:3]
	s_cselect_b32 s15, -1, 0
	s_lshl_b64 s[10:11], s[10:11], 10
	v_lshl_add_u64 v[4:5], v[4:5], 1, s[16:17]
	s_mov_b32 s16, 0
	s_branch .LBB8_5
.LBB8_2:                                ;   in Loop: Header=BB8_5 Depth=1
	v_lshl_add_u64 v[14:15], v[8:9], 1, s[2:3]
	global_load_u16 v13, v[14:15], off
.LBB8_3:                                ;   in Loop: Header=BB8_5 Depth=1
	v_lshl_add_u64 v[8:9], v[8:9], 1, v[4:5]
	s_wait_loadcnt 0x0
	s_delay_alu instid0(VALU_DEP_2)
	v_add_f16_e32 v1, v13, v1
	global_load_u16 v8, v[8:9], off
	s_wait_loadcnt 0x0
	v_fma_f16 v12, -v13, v8, v12
	ds_store_b16 v11, v12
	ds_store_b16 v10, v1
.LBB8_4:                                ;   in Loop: Header=BB8_5 Depth=1
	s_or_b32 exec_lo, exec_lo, s17
	v_add_nc_u64_e32 v[6:7], 0x200, v[6:7]
	v_add_nc_u64_e32 v[4:5], s[10:11], v[4:5]
	;; [unrolled: 1-line block ×3, first 2 shown]
	s_delay_alu instid0(VALU_DEP_3) | instskip(SKIP_1) | instid1(SALU_CYCLE_1)
	v_cmp_le_i64_e32 vcc_lo, s[8:9], v[6:7]
	s_or_b32 s16, vcc_lo, s16
	s_and_not1_b32 exec_lo, exec_lo, s16
	s_cbranch_execz .LBB8_8
.LBB8_5:                                ; =>This Inner Loop Header: Depth=1
	global_load_b32 v8, v[2:3], off
	s_mov_b32 s17, exec_lo
	s_wait_loadcnt 0x0
	v_ashrrev_i32_e32 v9, 31, v8
	s_delay_alu instid0(VALU_DEP_1)
	v_cmpx_ne_u64_e64 s[12:13], v[8:9]
	s_cbranch_execz .LBB8_4
; %bb.6:                                ;   in Loop: Header=BB8_5 Depth=1
	s_and_not1_b32 vcc_lo, exec_lo, s15
	s_cbranch_vccz .LBB8_2
; %bb.7:                                ;   in Loop: Header=BB8_5 Depth=1
	v_mov_b32_e32 v13, 0x3c00
	s_branch .LBB8_3
.LBB8_8:
	s_or_b32 exec_lo, exec_lo, s14
; %bb.9:
	s_mov_b32 s3, 0
	s_wait_dscnt 0x0
	s_barrier_signal -1
	s_barrier_wait -1
	s_mov_b32 s2, exec_lo
	v_cmpx_eq_u32_e32 0, v0
	s_cbranch_execz .LBB8_13
; %bb.10:
	s_mov_b32 s2, 0
	s_mov_b32 s8, 0
.LBB8_11:                               ; =>This Inner Loop Header: Depth=1
	v_mov_b32_e32 v12, s2
	s_add_co_i32 s2, s2, 32
	ds_load_b128 v[0:3], v12 offset:1024
	ds_load_b128 v[4:7], v12
	ds_load_b128 v[8:11], v12 offset:16
	ds_load_b128 v[12:15], v12 offset:1040
	s_wait_dscnt 0x3
	v_readfirstlane_b32 s9, v0
	s_wait_dscnt 0x2
	v_readfirstlane_b32 s10, v4
	v_readfirstlane_b32 s11, v1
	v_readfirstlane_b32 s12, v5
	s_add_f16 s8, s8, s9
	s_add_f16 s3, s3, s10
	s_lshr_b32 s9, s9, 16
	s_lshr_b32 s10, s10, 16
	s_add_f16 s8, s8, s9
	s_add_f16 s3, s3, s10
	v_readfirstlane_b32 s9, v2
	v_readfirstlane_b32 s10, v6
	s_add_f16 s8, s8, s11
	s_add_f16 s3, s3, s12
	s_lshr_b32 s11, s11, 16
	s_lshr_b32 s12, s12, 16
	s_add_f16 s8, s8, s11
	s_add_f16 s3, s3, s12
	v_readfirstlane_b32 s11, v3
	v_readfirstlane_b32 s12, v7
	s_add_f16 s8, s8, s9
	s_add_f16 s3, s3, s10
	s_lshr_b32 s9, s9, 16
	s_lshr_b32 s10, s10, 16
	s_add_f16 s8, s8, s9
	s_add_f16 s3, s3, s10
	s_wait_dscnt 0x0
	v_readfirstlane_b32 s9, v12
	v_readfirstlane_b32 s10, v8
	s_add_f16 s8, s8, s11
	s_add_f16 s3, s3, s12
	s_lshr_b32 s11, s11, 16
	s_lshr_b32 s12, s12, 16
	s_add_f16 s8, s8, s11
	s_add_f16 s3, s3, s12
	v_readfirstlane_b32 s11, v13
	v_readfirstlane_b32 s12, v9
	s_add_f16 s8, s8, s9
	s_add_f16 s3, s3, s10
	s_lshr_b32 s9, s9, 16
	s_lshr_b32 s10, s10, 16
	s_add_f16 s8, s8, s9
	s_add_f16 s3, s3, s10
	;; [unrolled: 8-line block ×4, first 2 shown]
	s_lshr_b32 s9, s11, 16
	s_lshr_b32 s10, s12, 16
	s_add_f16 s8, s8, s11
	s_add_f16 s3, s3, s12
	s_cmp_eq_u32 s2, 0x400
	s_delay_alu instid0(SALU_CYCLE_1) | instskip(NEXT) | instid1(SALU_CYCLE_1)
	s_add_f16 s8, s8, s9
	s_add_f16 s3, s3, s10
	s_cbranch_scc0 .LBB8_11
; %bb.12:
	s_delay_alu instid0(SALU_CYCLE_2)
	s_cvt_f32_f16 s2, s3
	s_cvt_f32_f16 s9, s8
	s_load_b32 s0, s[0:1], 0x28
	v_mov_b32_e32 v2, s3
	v_s_rcp_f32 s2, s2
	v_mov_b32_e32 v0, s8
	s_delay_alu instid0(TRANS32_DEP_1)
	s_mul_f32 s9, s9, s2
	s_delay_alu instid0(VALU_DEP_1) | instid1(SALU_CYCLE_3)
	v_fma_mix_f32 v0, -s3, s9, v0 op_sel_hi:[1,0,1]
	s_delay_alu instid0(VALU_DEP_1) | instskip(SKIP_3) | instid1(VALU_DEP_1)
	v_fma_f32 v0, v0, s2, s9
	s_wait_kmcnt 0x0
	s_bitcmp1_b32 s0, 0
	s_cselect_b32 vcc_lo, -1, 0
	v_fma_mix_f32 v1, -s3, v0, s8 op_sel_hi:[1,0,1]
	s_delay_alu instid0(VALU_DEP_1) | instskip(NEXT) | instid1(VALU_DEP_1)
	v_mul_f32_e32 v1, s2, v1
	v_and_b32_e32 v1, 0xff800000, v1
	s_delay_alu instid0(VALU_DEP_1) | instskip(NEXT) | instid1(VALU_DEP_1)
	v_dual_add_f32 v0, v1, v0 :: v_dual_mov_b32 v1, 0
	v_cvt_f16_f32_e32 v0, v0
	s_delay_alu instid0(VALU_DEP_1) | instskip(NEXT) | instid1(VALU_DEP_1)
	v_div_fixup_f16 v0, v0, s3, s8
	v_cndmask_b32_e32 v0, s8, v0, vcc_lo
	s_clause 0x1
	global_store_b16 v1, v2, s[6:7]
	global_store_b16 v1, v0, s[4:5]
.LBB8_13:
	s_endpgm
	.section	.rodata,"a",@progbits
	.p2align	6, 0x0
	.amdhsa_kernel _Z32nll_loss_forward_reduce2d_kernelI6__halfS0_iLi512EEvPT_S2_PKS1_PKT1_S4_blll
		.amdhsa_group_segment_fixed_size 2048
		.amdhsa_private_segment_fixed_size 0
		.amdhsa_kernarg_size 72
		.amdhsa_user_sgpr_count 2
		.amdhsa_user_sgpr_dispatch_ptr 0
		.amdhsa_user_sgpr_queue_ptr 0
		.amdhsa_user_sgpr_kernarg_segment_ptr 1
		.amdhsa_user_sgpr_dispatch_id 0
		.amdhsa_user_sgpr_kernarg_preload_length 0
		.amdhsa_user_sgpr_kernarg_preload_offset 0
		.amdhsa_user_sgpr_private_segment_size 0
		.amdhsa_wavefront_size32 1
		.amdhsa_uses_dynamic_stack 0
		.amdhsa_enable_private_segment 0
		.amdhsa_system_sgpr_workgroup_id_x 1
		.amdhsa_system_sgpr_workgroup_id_y 0
		.amdhsa_system_sgpr_workgroup_id_z 0
		.amdhsa_system_sgpr_workgroup_info 0
		.amdhsa_system_vgpr_workitem_id 0
		.amdhsa_next_free_vgpr 16
		.amdhsa_next_free_sgpr 20
		.amdhsa_named_barrier_count 0
		.amdhsa_reserve_vcc 1
		.amdhsa_float_round_mode_32 0
		.amdhsa_float_round_mode_16_64 0
		.amdhsa_float_denorm_mode_32 3
		.amdhsa_float_denorm_mode_16_64 3
		.amdhsa_fp16_overflow 0
		.amdhsa_memory_ordered 1
		.amdhsa_forward_progress 1
		.amdhsa_inst_pref_size 7
		.amdhsa_round_robin_scheduling 0
		.amdhsa_exception_fp_ieee_invalid_op 0
		.amdhsa_exception_fp_denorm_src 0
		.amdhsa_exception_fp_ieee_div_zero 0
		.amdhsa_exception_fp_ieee_overflow 0
		.amdhsa_exception_fp_ieee_underflow 0
		.amdhsa_exception_fp_ieee_inexact 0
		.amdhsa_exception_int_div_zero 0
	.end_amdhsa_kernel
	.section	.text._Z32nll_loss_forward_reduce2d_kernelI6__halfS0_iLi512EEvPT_S2_PKS1_PKT1_S4_blll,"axG",@progbits,_Z32nll_loss_forward_reduce2d_kernelI6__halfS0_iLi512EEvPT_S2_PKS1_PKT1_S4_blll,comdat
.Lfunc_end8:
	.size	_Z32nll_loss_forward_reduce2d_kernelI6__halfS0_iLi512EEvPT_S2_PKS1_PKT1_S4_blll, .Lfunc_end8-_Z32nll_loss_forward_reduce2d_kernelI6__halfS0_iLi512EEvPT_S2_PKS1_PKT1_S4_blll
                                        ; -- End function
	.set _Z32nll_loss_forward_reduce2d_kernelI6__halfS0_iLi512EEvPT_S2_PKS1_PKT1_S4_blll.num_vgpr, 16
	.set _Z32nll_loss_forward_reduce2d_kernelI6__halfS0_iLi512EEvPT_S2_PKS1_PKT1_S4_blll.num_agpr, 0
	.set _Z32nll_loss_forward_reduce2d_kernelI6__halfS0_iLi512EEvPT_S2_PKS1_PKT1_S4_blll.numbered_sgpr, 20
	.set _Z32nll_loss_forward_reduce2d_kernelI6__halfS0_iLi512EEvPT_S2_PKS1_PKT1_S4_blll.num_named_barrier, 0
	.set _Z32nll_loss_forward_reduce2d_kernelI6__halfS0_iLi512EEvPT_S2_PKS1_PKT1_S4_blll.private_seg_size, 0
	.set _Z32nll_loss_forward_reduce2d_kernelI6__halfS0_iLi512EEvPT_S2_PKS1_PKT1_S4_blll.uses_vcc, 1
	.set _Z32nll_loss_forward_reduce2d_kernelI6__halfS0_iLi512EEvPT_S2_PKS1_PKT1_S4_blll.uses_flat_scratch, 0
	.set _Z32nll_loss_forward_reduce2d_kernelI6__halfS0_iLi512EEvPT_S2_PKS1_PKT1_S4_blll.has_dyn_sized_stack, 0
	.set _Z32nll_loss_forward_reduce2d_kernelI6__halfS0_iLi512EEvPT_S2_PKS1_PKT1_S4_blll.has_recursion, 0
	.set _Z32nll_loss_forward_reduce2d_kernelI6__halfS0_iLi512EEvPT_S2_PKS1_PKT1_S4_blll.has_indirect_call, 0
	.section	.AMDGPU.csdata,"",@progbits
; Kernel info:
; codeLenInByte = 872
; TotalNumSgprs: 22
; NumVgprs: 16
; ScratchSize: 0
; MemoryBound: 0
; FloatMode: 240
; IeeeMode: 1
; LDSByteSize: 2048 bytes/workgroup (compile time only)
; SGPRBlocks: 0
; VGPRBlocks: 0
; NumSGPRsForWavesPerEU: 22
; NumVGPRsForWavesPerEU: 16
; NamedBarCnt: 0
; Occupancy: 16
; WaveLimiterHint : 1
; COMPUTE_PGM_RSRC2:SCRATCH_EN: 0
; COMPUTE_PGM_RSRC2:USER_SGPR: 2
; COMPUTE_PGM_RSRC2:TRAP_HANDLER: 0
; COMPUTE_PGM_RSRC2:TGID_X_EN: 1
; COMPUTE_PGM_RSRC2:TGID_Y_EN: 0
; COMPUTE_PGM_RSRC2:TGID_Z_EN: 0
; COMPUTE_PGM_RSRC2:TIDIG_COMP_CNT: 0
	.section	.text._Z32nll_loss_forward_reduce2d_kernelI6__halfS0_iLi1024EEvPT_S2_PKS1_PKT1_S4_blll,"axG",@progbits,_Z32nll_loss_forward_reduce2d_kernelI6__halfS0_iLi1024EEvPT_S2_PKS1_PKT1_S4_blll,comdat
	.protected	_Z32nll_loss_forward_reduce2d_kernelI6__halfS0_iLi1024EEvPT_S2_PKS1_PKT1_S4_blll ; -- Begin function _Z32nll_loss_forward_reduce2d_kernelI6__halfS0_iLi1024EEvPT_S2_PKS1_PKT1_S4_blll
	.globl	_Z32nll_loss_forward_reduce2d_kernelI6__halfS0_iLi1024EEvPT_S2_PKS1_PKT1_S4_blll
	.p2align	8
	.type	_Z32nll_loss_forward_reduce2d_kernelI6__halfS0_iLi1024EEvPT_S2_PKS1_PKT1_S4_blll,@function
_Z32nll_loss_forward_reduce2d_kernelI6__halfS0_iLi1024EEvPT_S2_PKS1_PKT1_S4_blll: ; @_Z32nll_loss_forward_reduce2d_kernelI6__halfS0_iLi1024EEvPT_S2_PKS1_PKT1_S4_blll
; %bb.0:
	s_clause 0x1
	s_load_b128 s[8:11], s[0:1], 0x30
	s_load_b128 s[4:7], s[0:1], 0x0
	v_dual_mov_b32 v1, 0 :: v_dual_lshlrev_b32 v10, 1, v0
	s_mov_b32 s14, exec_lo
	ds_store_b16 v10, v1 offset:2048
	ds_store_b16 v10, v1
	s_wait_kmcnt 0x0
	v_cmpx_gt_i64_e64 s[8:9], v[0:1]
	s_cbranch_execz .LBB9_8
; %bb.1:
	v_mul_u64_e32 v[4:5], s[10:11], v[0:1]
	s_clause 0x2
	s_load_b64 s[2:3], s[0:1], 0x20
	s_load_b128 s[16:19], s[0:1], 0x10
	s_load_b64 s[12:13], s[0:1], 0x40
	v_dual_mov_b32 v3, v1 :: v_dual_lshlrev_b32 v2, 2, v0
	v_mov_b64_e32 v[6:7], v[0:1]
	v_or_b32_e32 v11, 0x800, v10
	v_mov_b32_e32 v12, v1
	s_wait_kmcnt 0x0
	s_cmp_lg_u64 s[2:3], 0
	v_add_nc_u64_e32 v[2:3], s[18:19], v[2:3]
	s_cselect_b32 s15, -1, 0
	s_lshl_b64 s[10:11], s[10:11], 11
	v_lshl_add_u64 v[4:5], v[4:5], 1, s[16:17]
	s_mov_b32 s16, 0
	s_branch .LBB9_5
.LBB9_2:                                ;   in Loop: Header=BB9_5 Depth=1
	v_lshl_add_u64 v[14:15], v[8:9], 1, s[2:3]
	global_load_u16 v13, v[14:15], off
.LBB9_3:                                ;   in Loop: Header=BB9_5 Depth=1
	v_lshl_add_u64 v[8:9], v[8:9], 1, v[4:5]
	s_wait_loadcnt 0x0
	s_delay_alu instid0(VALU_DEP_2)
	v_add_f16_e32 v1, v13, v1
	global_load_u16 v8, v[8:9], off
	s_wait_loadcnt 0x0
	v_fma_f16 v12, -v13, v8, v12
	ds_store_b16 v11, v12
	ds_store_b16 v10, v1
.LBB9_4:                                ;   in Loop: Header=BB9_5 Depth=1
	s_or_b32 exec_lo, exec_lo, s17
	v_add_nc_u64_e32 v[6:7], 0x400, v[6:7]
	v_add_nc_u64_e32 v[4:5], s[10:11], v[4:5]
	;; [unrolled: 1-line block ×3, first 2 shown]
	s_delay_alu instid0(VALU_DEP_3) | instskip(SKIP_1) | instid1(SALU_CYCLE_1)
	v_cmp_le_i64_e32 vcc_lo, s[8:9], v[6:7]
	s_or_b32 s16, vcc_lo, s16
	s_and_not1_b32 exec_lo, exec_lo, s16
	s_cbranch_execz .LBB9_8
.LBB9_5:                                ; =>This Inner Loop Header: Depth=1
	global_load_b32 v8, v[2:3], off
	s_mov_b32 s17, exec_lo
	s_wait_loadcnt 0x0
	v_ashrrev_i32_e32 v9, 31, v8
	s_delay_alu instid0(VALU_DEP_1)
	v_cmpx_ne_u64_e64 s[12:13], v[8:9]
	s_cbranch_execz .LBB9_4
; %bb.6:                                ;   in Loop: Header=BB9_5 Depth=1
	s_and_not1_b32 vcc_lo, exec_lo, s15
	s_cbranch_vccz .LBB9_2
; %bb.7:                                ;   in Loop: Header=BB9_5 Depth=1
	v_mov_b32_e32 v13, 0x3c00
	s_branch .LBB9_3
.LBB9_8:
	s_or_b32 exec_lo, exec_lo, s14
; %bb.9:
	s_mov_b32 s3, 0
	s_wait_dscnt 0x0
	s_barrier_signal -1
	s_barrier_wait -1
	s_mov_b32 s2, exec_lo
	v_cmpx_eq_u32_e32 0, v0
	s_cbranch_execz .LBB9_13
; %bb.10:
	s_mov_b32 s2, 0
	s_mov_b32 s8, 0
.LBB9_11:                               ; =>This Inner Loop Header: Depth=1
	v_mov_b32_e32 v12, s2
	s_add_co_i32 s2, s2, 32
	ds_load_b128 v[0:3], v12 offset:2048
	ds_load_b128 v[4:7], v12
	ds_load_b128 v[8:11], v12 offset:16
	ds_load_b128 v[12:15], v12 offset:2064
	s_wait_dscnt 0x3
	v_readfirstlane_b32 s9, v0
	s_wait_dscnt 0x2
	v_readfirstlane_b32 s10, v4
	v_readfirstlane_b32 s11, v1
	;; [unrolled: 1-line block ×3, first 2 shown]
	s_add_f16 s8, s8, s9
	s_add_f16 s3, s3, s10
	s_lshr_b32 s9, s9, 16
	s_lshr_b32 s10, s10, 16
	s_add_f16 s8, s8, s9
	s_add_f16 s3, s3, s10
	v_readfirstlane_b32 s9, v2
	v_readfirstlane_b32 s10, v6
	s_add_f16 s8, s8, s11
	s_add_f16 s3, s3, s12
	s_lshr_b32 s11, s11, 16
	s_lshr_b32 s12, s12, 16
	s_add_f16 s8, s8, s11
	s_add_f16 s3, s3, s12
	v_readfirstlane_b32 s11, v3
	v_readfirstlane_b32 s12, v7
	s_add_f16 s8, s8, s9
	s_add_f16 s3, s3, s10
	s_lshr_b32 s9, s9, 16
	s_lshr_b32 s10, s10, 16
	s_add_f16 s8, s8, s9
	s_add_f16 s3, s3, s10
	s_wait_dscnt 0x0
	v_readfirstlane_b32 s9, v12
	v_readfirstlane_b32 s10, v8
	s_add_f16 s8, s8, s11
	s_add_f16 s3, s3, s12
	s_lshr_b32 s11, s11, 16
	s_lshr_b32 s12, s12, 16
	s_add_f16 s8, s8, s11
	s_add_f16 s3, s3, s12
	v_readfirstlane_b32 s11, v13
	v_readfirstlane_b32 s12, v9
	s_add_f16 s8, s8, s9
	s_add_f16 s3, s3, s10
	s_lshr_b32 s9, s9, 16
	s_lshr_b32 s10, s10, 16
	s_add_f16 s8, s8, s9
	s_add_f16 s3, s3, s10
	;; [unrolled: 8-line block ×4, first 2 shown]
	s_lshr_b32 s9, s11, 16
	s_lshr_b32 s10, s12, 16
	s_add_f16 s8, s8, s11
	s_add_f16 s3, s3, s12
	s_cmp_eq_u32 s2, 0x800
	s_delay_alu instid0(SALU_CYCLE_1) | instskip(NEXT) | instid1(SALU_CYCLE_1)
	s_add_f16 s8, s8, s9
	s_add_f16 s3, s3, s10
	s_cbranch_scc0 .LBB9_11
; %bb.12:
	s_delay_alu instid0(SALU_CYCLE_2)
	s_cvt_f32_f16 s2, s3
	s_cvt_f32_f16 s9, s8
	s_load_b32 s0, s[0:1], 0x28
	v_mov_b32_e32 v2, s3
	v_s_rcp_f32 s2, s2
	v_mov_b32_e32 v0, s8
	s_delay_alu instid0(TRANS32_DEP_1)
	s_mul_f32 s9, s9, s2
	s_delay_alu instid0(VALU_DEP_1) | instid1(SALU_CYCLE_3)
	v_fma_mix_f32 v0, -s3, s9, v0 op_sel_hi:[1,0,1]
	s_delay_alu instid0(VALU_DEP_1) | instskip(SKIP_3) | instid1(VALU_DEP_1)
	v_fma_f32 v0, v0, s2, s9
	s_wait_kmcnt 0x0
	s_bitcmp1_b32 s0, 0
	s_cselect_b32 vcc_lo, -1, 0
	v_fma_mix_f32 v1, -s3, v0, s8 op_sel_hi:[1,0,1]
	s_delay_alu instid0(VALU_DEP_1) | instskip(NEXT) | instid1(VALU_DEP_1)
	v_mul_f32_e32 v1, s2, v1
	v_and_b32_e32 v1, 0xff800000, v1
	s_delay_alu instid0(VALU_DEP_1) | instskip(NEXT) | instid1(VALU_DEP_1)
	v_dual_add_f32 v0, v1, v0 :: v_dual_mov_b32 v1, 0
	v_cvt_f16_f32_e32 v0, v0
	s_delay_alu instid0(VALU_DEP_1) | instskip(NEXT) | instid1(VALU_DEP_1)
	v_div_fixup_f16 v0, v0, s3, s8
	v_cndmask_b32_e32 v0, s8, v0, vcc_lo
	s_clause 0x1
	global_store_b16 v1, v2, s[6:7]
	global_store_b16 v1, v0, s[4:5]
.LBB9_13:
	s_endpgm
	.section	.rodata,"a",@progbits
	.p2align	6, 0x0
	.amdhsa_kernel _Z32nll_loss_forward_reduce2d_kernelI6__halfS0_iLi1024EEvPT_S2_PKS1_PKT1_S4_blll
		.amdhsa_group_segment_fixed_size 4096
		.amdhsa_private_segment_fixed_size 0
		.amdhsa_kernarg_size 72
		.amdhsa_user_sgpr_count 2
		.amdhsa_user_sgpr_dispatch_ptr 0
		.amdhsa_user_sgpr_queue_ptr 0
		.amdhsa_user_sgpr_kernarg_segment_ptr 1
		.amdhsa_user_sgpr_dispatch_id 0
		.amdhsa_user_sgpr_kernarg_preload_length 0
		.amdhsa_user_sgpr_kernarg_preload_offset 0
		.amdhsa_user_sgpr_private_segment_size 0
		.amdhsa_wavefront_size32 1
		.amdhsa_uses_dynamic_stack 0
		.amdhsa_enable_private_segment 0
		.amdhsa_system_sgpr_workgroup_id_x 1
		.amdhsa_system_sgpr_workgroup_id_y 0
		.amdhsa_system_sgpr_workgroup_id_z 0
		.amdhsa_system_sgpr_workgroup_info 0
		.amdhsa_system_vgpr_workitem_id 0
		.amdhsa_next_free_vgpr 16
		.amdhsa_next_free_sgpr 20
		.amdhsa_named_barrier_count 0
		.amdhsa_reserve_vcc 1
		.amdhsa_float_round_mode_32 0
		.amdhsa_float_round_mode_16_64 0
		.amdhsa_float_denorm_mode_32 3
		.amdhsa_float_denorm_mode_16_64 3
		.amdhsa_fp16_overflow 0
		.amdhsa_memory_ordered 1
		.amdhsa_forward_progress 1
		.amdhsa_inst_pref_size 7
		.amdhsa_round_robin_scheduling 0
		.amdhsa_exception_fp_ieee_invalid_op 0
		.amdhsa_exception_fp_denorm_src 0
		.amdhsa_exception_fp_ieee_div_zero 0
		.amdhsa_exception_fp_ieee_overflow 0
		.amdhsa_exception_fp_ieee_underflow 0
		.amdhsa_exception_fp_ieee_inexact 0
		.amdhsa_exception_int_div_zero 0
	.end_amdhsa_kernel
	.section	.text._Z32nll_loss_forward_reduce2d_kernelI6__halfS0_iLi1024EEvPT_S2_PKS1_PKT1_S4_blll,"axG",@progbits,_Z32nll_loss_forward_reduce2d_kernelI6__halfS0_iLi1024EEvPT_S2_PKS1_PKT1_S4_blll,comdat
.Lfunc_end9:
	.size	_Z32nll_loss_forward_reduce2d_kernelI6__halfS0_iLi1024EEvPT_S2_PKS1_PKT1_S4_blll, .Lfunc_end9-_Z32nll_loss_forward_reduce2d_kernelI6__halfS0_iLi1024EEvPT_S2_PKS1_PKT1_S4_blll
                                        ; -- End function
	.set _Z32nll_loss_forward_reduce2d_kernelI6__halfS0_iLi1024EEvPT_S2_PKS1_PKT1_S4_blll.num_vgpr, 16
	.set _Z32nll_loss_forward_reduce2d_kernelI6__halfS0_iLi1024EEvPT_S2_PKS1_PKT1_S4_blll.num_agpr, 0
	.set _Z32nll_loss_forward_reduce2d_kernelI6__halfS0_iLi1024EEvPT_S2_PKS1_PKT1_S4_blll.numbered_sgpr, 20
	.set _Z32nll_loss_forward_reduce2d_kernelI6__halfS0_iLi1024EEvPT_S2_PKS1_PKT1_S4_blll.num_named_barrier, 0
	.set _Z32nll_loss_forward_reduce2d_kernelI6__halfS0_iLi1024EEvPT_S2_PKS1_PKT1_S4_blll.private_seg_size, 0
	.set _Z32nll_loss_forward_reduce2d_kernelI6__halfS0_iLi1024EEvPT_S2_PKS1_PKT1_S4_blll.uses_vcc, 1
	.set _Z32nll_loss_forward_reduce2d_kernelI6__halfS0_iLi1024EEvPT_S2_PKS1_PKT1_S4_blll.uses_flat_scratch, 0
	.set _Z32nll_loss_forward_reduce2d_kernelI6__halfS0_iLi1024EEvPT_S2_PKS1_PKT1_S4_blll.has_dyn_sized_stack, 0
	.set _Z32nll_loss_forward_reduce2d_kernelI6__halfS0_iLi1024EEvPT_S2_PKS1_PKT1_S4_blll.has_recursion, 0
	.set _Z32nll_loss_forward_reduce2d_kernelI6__halfS0_iLi1024EEvPT_S2_PKS1_PKT1_S4_blll.has_indirect_call, 0
	.section	.AMDGPU.csdata,"",@progbits
; Kernel info:
; codeLenInByte = 872
; TotalNumSgprs: 22
; NumVgprs: 16
; ScratchSize: 0
; MemoryBound: 0
; FloatMode: 240
; IeeeMode: 1
; LDSByteSize: 4096 bytes/workgroup (compile time only)
; SGPRBlocks: 0
; VGPRBlocks: 0
; NumSGPRsForWavesPerEU: 22
; NumVGPRsForWavesPerEU: 16
; NamedBarCnt: 0
; Occupancy: 16
; WaveLimiterHint : 1
; COMPUTE_PGM_RSRC2:SCRATCH_EN: 0
; COMPUTE_PGM_RSRC2:USER_SGPR: 2
; COMPUTE_PGM_RSRC2:TRAP_HANDLER: 0
; COMPUTE_PGM_RSRC2:TGID_X_EN: 1
; COMPUTE_PGM_RSRC2:TGID_Y_EN: 0
; COMPUTE_PGM_RSRC2:TGID_Z_EN: 0
; COMPUTE_PGM_RSRC2:TIDIG_COMP_CNT: 0
	.section	.AMDGPU.gpr_maximums,"",@progbits
	.set amdgpu.max_num_vgpr, 0
	.set amdgpu.max_num_agpr, 0
	.set amdgpu.max_num_sgpr, 0
	.section	.AMDGPU.csdata,"",@progbits
	.type	__hip_cuid_3528a47c320b7a7c,@object ; @__hip_cuid_3528a47c320b7a7c
	.section	.bss,"aw",@nobits
	.globl	__hip_cuid_3528a47c320b7a7c
__hip_cuid_3528a47c320b7a7c:
	.byte	0                               ; 0x0
	.size	__hip_cuid_3528a47c320b7a7c, 1

	.ident	"AMD clang version 22.0.0git (https://github.com/RadeonOpenCompute/llvm-project roc-7.2.4 26084 f58b06dce1f9c15707c5f808fd002e18c2accf7e)"
	.section	".note.GNU-stack","",@progbits
	.addrsig
	.addrsig_sym __hip_cuid_3528a47c320b7a7c
	.amdgpu_metadata
---
amdhsa.kernels:
  - .args:
      - .actual_access:  write_only
        .address_space:  global
        .offset:         0
        .size:           8
        .value_kind:     global_buffer
      - .actual_access:  write_only
        .address_space:  global
        .offset:         8
        .size:           8
        .value_kind:     global_buffer
      - .actual_access:  read_only
        .address_space:  global
        .offset:         16
        .size:           8
        .value_kind:     global_buffer
      - .actual_access:  read_only
        .address_space:  global
        .offset:         24
        .size:           8
        .value_kind:     global_buffer
      - .actual_access:  read_only
        .address_space:  global
        .offset:         32
        .size:           8
        .value_kind:     global_buffer
      - .offset:         40
        .size:           1
        .value_kind:     by_value
      - .offset:         48
        .size:           8
        .value_kind:     by_value
      - .offset:         56
        .size:           8
        .value_kind:     by_value
      - .offset:         64
        .size:           8
        .value_kind:     by_value
    .group_segment_fixed_size: 512
    .kernarg_segment_align: 8
    .kernarg_segment_size: 72
    .language:       OpenCL C
    .language_version:
      - 2
      - 0
    .max_flat_workgroup_size: 1024
    .name:           _Z32nll_loss_forward_reduce2d_kernelIffiLi64EEvPT_S1_PKS0_PKT1_S3_blll
    .private_segment_fixed_size: 0
    .sgpr_count:     22
    .sgpr_spill_count: 0
    .symbol:         _Z32nll_loss_forward_reduce2d_kernelIffiLi64EEvPT_S1_PKS0_PKT1_S3_blll.kd
    .uniform_work_group_size: 1
    .uses_dynamic_stack: false
    .vgpr_count:     34
    .vgpr_spill_count: 0
    .wavefront_size: 32
  - .args:
      - .actual_access:  write_only
        .address_space:  global
        .offset:         0
        .size:           8
        .value_kind:     global_buffer
      - .actual_access:  write_only
        .address_space:  global
        .offset:         8
        .size:           8
        .value_kind:     global_buffer
      - .actual_access:  read_only
        .address_space:  global
        .offset:         16
        .size:           8
        .value_kind:     global_buffer
      - .actual_access:  read_only
        .address_space:  global
        .offset:         24
        .size:           8
        .value_kind:     global_buffer
      - .actual_access:  read_only
        .address_space:  global
        .offset:         32
        .size:           8
        .value_kind:     global_buffer
      - .offset:         40
        .size:           1
        .value_kind:     by_value
      - .offset:         48
        .size:           8
        .value_kind:     by_value
      - .offset:         56
        .size:           8
        .value_kind:     by_value
      - .offset:         64
        .size:           8
        .value_kind:     by_value
    .group_segment_fixed_size: 1024
    .kernarg_segment_align: 8
    .kernarg_segment_size: 72
    .language:       OpenCL C
    .language_version:
      - 2
      - 0
    .max_flat_workgroup_size: 1024
    .name:           _Z32nll_loss_forward_reduce2d_kernelIffiLi128EEvPT_S1_PKS0_PKT1_S3_blll
    .private_segment_fixed_size: 0
    .sgpr_count:     22
    .sgpr_spill_count: 0
    .symbol:         _Z32nll_loss_forward_reduce2d_kernelIffiLi128EEvPT_S1_PKS0_PKT1_S3_blll.kd
    .uniform_work_group_size: 1
    .uses_dynamic_stack: false
    .vgpr_count:     24
    .vgpr_spill_count: 0
    .wavefront_size: 32
  - .args:
      - .actual_access:  write_only
        .address_space:  global
        .offset:         0
        .size:           8
        .value_kind:     global_buffer
      - .actual_access:  write_only
        .address_space:  global
        .offset:         8
        .size:           8
        .value_kind:     global_buffer
      - .actual_access:  read_only
        .address_space:  global
        .offset:         16
        .size:           8
        .value_kind:     global_buffer
      - .actual_access:  read_only
        .address_space:  global
        .offset:         24
        .size:           8
        .value_kind:     global_buffer
      - .actual_access:  read_only
        .address_space:  global
        .offset:         32
        .size:           8
        .value_kind:     global_buffer
      - .offset:         40
        .size:           1
        .value_kind:     by_value
      - .offset:         48
        .size:           8
        .value_kind:     by_value
      - .offset:         56
        .size:           8
        .value_kind:     by_value
      - .offset:         64
        .size:           8
        .value_kind:     by_value
    .group_segment_fixed_size: 2048
    .kernarg_segment_align: 8
    .kernarg_segment_size: 72
    .language:       OpenCL C
    .language_version:
      - 2
      - 0
    .max_flat_workgroup_size: 1024
    .name:           _Z32nll_loss_forward_reduce2d_kernelIffiLi256EEvPT_S1_PKS0_PKT1_S3_blll
    .private_segment_fixed_size: 0
    .sgpr_count:     22
    .sgpr_spill_count: 0
    .symbol:         _Z32nll_loss_forward_reduce2d_kernelIffiLi256EEvPT_S1_PKS0_PKT1_S3_blll.kd
    .uniform_work_group_size: 1
    .uses_dynamic_stack: false
    .vgpr_count:     23
    .vgpr_spill_count: 0
    .wavefront_size: 32
  - .args:
      - .actual_access:  write_only
        .address_space:  global
        .offset:         0
        .size:           8
        .value_kind:     global_buffer
      - .actual_access:  write_only
        .address_space:  global
        .offset:         8
        .size:           8
        .value_kind:     global_buffer
      - .actual_access:  read_only
        .address_space:  global
        .offset:         16
        .size:           8
        .value_kind:     global_buffer
      - .actual_access:  read_only
        .address_space:  global
        .offset:         24
        .size:           8
        .value_kind:     global_buffer
      - .actual_access:  read_only
        .address_space:  global
        .offset:         32
        .size:           8
        .value_kind:     global_buffer
      - .offset:         40
        .size:           1
        .value_kind:     by_value
      - .offset:         48
        .size:           8
        .value_kind:     by_value
      - .offset:         56
        .size:           8
        .value_kind:     by_value
      - .offset:         64
        .size:           8
        .value_kind:     by_value
    .group_segment_fixed_size: 4096
    .kernarg_segment_align: 8
    .kernarg_segment_size: 72
    .language:       OpenCL C
    .language_version:
      - 2
      - 0
    .max_flat_workgroup_size: 1024
    .name:           _Z32nll_loss_forward_reduce2d_kernelIffiLi512EEvPT_S1_PKS0_PKT1_S3_blll
    .private_segment_fixed_size: 0
    .sgpr_count:     22
    .sgpr_spill_count: 0
    .symbol:         _Z32nll_loss_forward_reduce2d_kernelIffiLi512EEvPT_S1_PKS0_PKT1_S3_blll.kd
    .uniform_work_group_size: 1
    .uses_dynamic_stack: false
    .vgpr_count:     23
    .vgpr_spill_count: 0
    .wavefront_size: 32
  - .args:
      - .actual_access:  write_only
        .address_space:  global
        .offset:         0
        .size:           8
        .value_kind:     global_buffer
      - .actual_access:  write_only
        .address_space:  global
        .offset:         8
        .size:           8
        .value_kind:     global_buffer
      - .actual_access:  read_only
        .address_space:  global
        .offset:         16
        .size:           8
        .value_kind:     global_buffer
      - .actual_access:  read_only
        .address_space:  global
        .offset:         24
        .size:           8
        .value_kind:     global_buffer
      - .actual_access:  read_only
        .address_space:  global
        .offset:         32
        .size:           8
        .value_kind:     global_buffer
      - .offset:         40
        .size:           1
        .value_kind:     by_value
      - .offset:         48
        .size:           8
        .value_kind:     by_value
      - .offset:         56
        .size:           8
        .value_kind:     by_value
      - .offset:         64
        .size:           8
        .value_kind:     by_value
    .group_segment_fixed_size: 8192
    .kernarg_segment_align: 8
    .kernarg_segment_size: 72
    .language:       OpenCL C
    .language_version:
      - 2
      - 0
    .max_flat_workgroup_size: 1024
    .name:           _Z32nll_loss_forward_reduce2d_kernelIffiLi1024EEvPT_S1_PKS0_PKT1_S3_blll
    .private_segment_fixed_size: 0
    .sgpr_count:     22
    .sgpr_spill_count: 0
    .symbol:         _Z32nll_loss_forward_reduce2d_kernelIffiLi1024EEvPT_S1_PKS0_PKT1_S3_blll.kd
    .uniform_work_group_size: 1
    .uses_dynamic_stack: false
    .vgpr_count:     23
    .vgpr_spill_count: 0
    .wavefront_size: 32
  - .args:
      - .actual_access:  write_only
        .address_space:  global
        .offset:         0
        .size:           8
        .value_kind:     global_buffer
      - .actual_access:  write_only
        .address_space:  global
        .offset:         8
        .size:           8
        .value_kind:     global_buffer
      - .actual_access:  read_only
        .address_space:  global
        .offset:         16
        .size:           8
        .value_kind:     global_buffer
      - .actual_access:  read_only
        .address_space:  global
        .offset:         24
        .size:           8
        .value_kind:     global_buffer
      - .actual_access:  read_only
        .address_space:  global
        .offset:         32
        .size:           8
        .value_kind:     global_buffer
      - .offset:         40
        .size:           1
        .value_kind:     by_value
      - .offset:         48
        .size:           8
        .value_kind:     by_value
      - .offset:         56
        .size:           8
        .value_kind:     by_value
      - .offset:         64
        .size:           8
        .value_kind:     by_value
    .group_segment_fixed_size: 256
    .kernarg_segment_align: 8
    .kernarg_segment_size: 72
    .language:       OpenCL C
    .language_version:
      - 2
      - 0
    .max_flat_workgroup_size: 1024
    .name:           _Z32nll_loss_forward_reduce2d_kernelI6__halfS0_iLi64EEvPT_S2_PKS1_PKT1_S4_blll
    .private_segment_fixed_size: 0
    .sgpr_count:     22
    .sgpr_spill_count: 0
    .symbol:         _Z32nll_loss_forward_reduce2d_kernelI6__halfS0_iLi64EEvPT_S2_PKS1_PKT1_S4_blll.kd
    .uniform_work_group_size: 1
    .uses_dynamic_stack: false
    .vgpr_count:     22
    .vgpr_spill_count: 0
    .wavefront_size: 32
  - .args:
      - .actual_access:  write_only
        .address_space:  global
        .offset:         0
        .size:           8
        .value_kind:     global_buffer
      - .actual_access:  write_only
        .address_space:  global
        .offset:         8
        .size:           8
        .value_kind:     global_buffer
      - .actual_access:  read_only
        .address_space:  global
        .offset:         16
        .size:           8
        .value_kind:     global_buffer
      - .actual_access:  read_only
        .address_space:  global
        .offset:         24
        .size:           8
        .value_kind:     global_buffer
      - .actual_access:  read_only
        .address_space:  global
        .offset:         32
        .size:           8
        .value_kind:     global_buffer
      - .offset:         40
        .size:           1
        .value_kind:     by_value
      - .offset:         48
        .size:           8
        .value_kind:     by_value
      - .offset:         56
        .size:           8
        .value_kind:     by_value
      - .offset:         64
        .size:           8
        .value_kind:     by_value
    .group_segment_fixed_size: 512
    .kernarg_segment_align: 8
    .kernarg_segment_size: 72
    .language:       OpenCL C
    .language_version:
      - 2
      - 0
    .max_flat_workgroup_size: 1024
    .name:           _Z32nll_loss_forward_reduce2d_kernelI6__halfS0_iLi128EEvPT_S2_PKS1_PKT1_S4_blll
    .private_segment_fixed_size: 0
    .sgpr_count:     22
    .sgpr_spill_count: 0
    .symbol:         _Z32nll_loss_forward_reduce2d_kernelI6__halfS0_iLi128EEvPT_S2_PKS1_PKT1_S4_blll.kd
    .uniform_work_group_size: 1
    .uses_dynamic_stack: false
    .vgpr_count:     16
    .vgpr_spill_count: 0
    .wavefront_size: 32
  - .args:
      - .actual_access:  write_only
        .address_space:  global
        .offset:         0
        .size:           8
        .value_kind:     global_buffer
      - .actual_access:  write_only
        .address_space:  global
        .offset:         8
        .size:           8
        .value_kind:     global_buffer
      - .actual_access:  read_only
        .address_space:  global
        .offset:         16
        .size:           8
        .value_kind:     global_buffer
      - .actual_access:  read_only
        .address_space:  global
        .offset:         24
        .size:           8
        .value_kind:     global_buffer
      - .actual_access:  read_only
        .address_space:  global
        .offset:         32
        .size:           8
        .value_kind:     global_buffer
      - .offset:         40
        .size:           1
        .value_kind:     by_value
      - .offset:         48
        .size:           8
        .value_kind:     by_value
      - .offset:         56
        .size:           8
        .value_kind:     by_value
      - .offset:         64
        .size:           8
        .value_kind:     by_value
    .group_segment_fixed_size: 1024
    .kernarg_segment_align: 8
    .kernarg_segment_size: 72
    .language:       OpenCL C
    .language_version:
      - 2
      - 0
    .max_flat_workgroup_size: 1024
    .name:           _Z32nll_loss_forward_reduce2d_kernelI6__halfS0_iLi256EEvPT_S2_PKS1_PKT1_S4_blll
    .private_segment_fixed_size: 0
    .sgpr_count:     22
    .sgpr_spill_count: 0
    .symbol:         _Z32nll_loss_forward_reduce2d_kernelI6__halfS0_iLi256EEvPT_S2_PKS1_PKT1_S4_blll.kd
    .uniform_work_group_size: 1
    .uses_dynamic_stack: false
    .vgpr_count:     16
    .vgpr_spill_count: 0
    .wavefront_size: 32
  - .args:
      - .actual_access:  write_only
        .address_space:  global
        .offset:         0
        .size:           8
        .value_kind:     global_buffer
      - .actual_access:  write_only
        .address_space:  global
        .offset:         8
        .size:           8
        .value_kind:     global_buffer
      - .actual_access:  read_only
        .address_space:  global
        .offset:         16
        .size:           8
        .value_kind:     global_buffer
      - .actual_access:  read_only
        .address_space:  global
        .offset:         24
        .size:           8
        .value_kind:     global_buffer
      - .actual_access:  read_only
        .address_space:  global
        .offset:         32
        .size:           8
        .value_kind:     global_buffer
      - .offset:         40
        .size:           1
        .value_kind:     by_value
      - .offset:         48
        .size:           8
        .value_kind:     by_value
      - .offset:         56
        .size:           8
        .value_kind:     by_value
      - .offset:         64
        .size:           8
        .value_kind:     by_value
    .group_segment_fixed_size: 2048
    .kernarg_segment_align: 8
    .kernarg_segment_size: 72
    .language:       OpenCL C
    .language_version:
      - 2
      - 0
    .max_flat_workgroup_size: 1024
    .name:           _Z32nll_loss_forward_reduce2d_kernelI6__halfS0_iLi512EEvPT_S2_PKS1_PKT1_S4_blll
    .private_segment_fixed_size: 0
    .sgpr_count:     22
    .sgpr_spill_count: 0
    .symbol:         _Z32nll_loss_forward_reduce2d_kernelI6__halfS0_iLi512EEvPT_S2_PKS1_PKT1_S4_blll.kd
    .uniform_work_group_size: 1
    .uses_dynamic_stack: false
    .vgpr_count:     16
    .vgpr_spill_count: 0
    .wavefront_size: 32
  - .args:
      - .actual_access:  write_only
        .address_space:  global
        .offset:         0
        .size:           8
        .value_kind:     global_buffer
      - .actual_access:  write_only
        .address_space:  global
        .offset:         8
        .size:           8
        .value_kind:     global_buffer
      - .actual_access:  read_only
        .address_space:  global
        .offset:         16
        .size:           8
        .value_kind:     global_buffer
      - .actual_access:  read_only
        .address_space:  global
        .offset:         24
        .size:           8
        .value_kind:     global_buffer
      - .actual_access:  read_only
        .address_space:  global
        .offset:         32
        .size:           8
        .value_kind:     global_buffer
      - .offset:         40
        .size:           1
        .value_kind:     by_value
      - .offset:         48
        .size:           8
        .value_kind:     by_value
      - .offset:         56
        .size:           8
        .value_kind:     by_value
      - .offset:         64
        .size:           8
        .value_kind:     by_value
    .group_segment_fixed_size: 4096
    .kernarg_segment_align: 8
    .kernarg_segment_size: 72
    .language:       OpenCL C
    .language_version:
      - 2
      - 0
    .max_flat_workgroup_size: 1024
    .name:           _Z32nll_loss_forward_reduce2d_kernelI6__halfS0_iLi1024EEvPT_S2_PKS1_PKT1_S4_blll
    .private_segment_fixed_size: 0
    .sgpr_count:     22
    .sgpr_spill_count: 0
    .symbol:         _Z32nll_loss_forward_reduce2d_kernelI6__halfS0_iLi1024EEvPT_S2_PKS1_PKT1_S4_blll.kd
    .uniform_work_group_size: 1
    .uses_dynamic_stack: false
    .vgpr_count:     16
    .vgpr_spill_count: 0
    .wavefront_size: 32
amdhsa.target:   amdgcn-amd-amdhsa--gfx1250
amdhsa.version:
  - 1
  - 2
...

	.end_amdgpu_metadata
